;; amdgpu-corpus repo=ROCm/rocFFT kind=compiled arch=gfx1201 opt=O3
	.text
	.amdgcn_target "amdgcn-amd-amdhsa--gfx1201"
	.amdhsa_code_object_version 6
	.protected	fft_rtc_fwd_len204_factors_17_4_3_wgs_119_tpt_17_halfLds_sp_ip_CI_unitstride_sbrr_R2C_dirReg ; -- Begin function fft_rtc_fwd_len204_factors_17_4_3_wgs_119_tpt_17_halfLds_sp_ip_CI_unitstride_sbrr_R2C_dirReg
	.globl	fft_rtc_fwd_len204_factors_17_4_3_wgs_119_tpt_17_halfLds_sp_ip_CI_unitstride_sbrr_R2C_dirReg
	.p2align	8
	.type	fft_rtc_fwd_len204_factors_17_4_3_wgs_119_tpt_17_halfLds_sp_ip_CI_unitstride_sbrr_R2C_dirReg,@function
fft_rtc_fwd_len204_factors_17_4_3_wgs_119_tpt_17_halfLds_sp_ip_CI_unitstride_sbrr_R2C_dirReg: ; @fft_rtc_fwd_len204_factors_17_4_3_wgs_119_tpt_17_halfLds_sp_ip_CI_unitstride_sbrr_R2C_dirReg
; %bb.0:
	s_load_b128 s[4:7], s[0:1], 0x0
	v_mul_u32_u24_e32 v1, 0xf10, v0
	s_clause 0x1
	s_load_b64 s[8:9], s[0:1], 0x50
	s_load_b64 s[10:11], s[0:1], 0x18
	v_mov_b32_e32 v5, 0
	v_lshrrev_b32_e32 v1, 16, v1
	s_delay_alu instid0(VALU_DEP_1) | instskip(SKIP_3) | instid1(VALU_DEP_1)
	v_mad_co_u64_u32 v[1:2], null, ttmp9, 7, v[1:2]
	v_mov_b32_e32 v3, 0
	v_mov_b32_e32 v4, 0
	;; [unrolled: 1-line block ×4, first 2 shown]
	s_wait_kmcnt 0x0
	v_cmp_lt_u64_e64 s2, s[6:7], 2
	v_mov_b32_e32 v9, v1
	s_delay_alu instid0(VALU_DEP_2)
	s_and_b32 vcc_lo, exec_lo, s2
	s_cbranch_vccnz .LBB0_8
; %bb.1:
	s_load_b64 s[2:3], s[0:1], 0x10
	v_dual_mov_b32 v3, 0 :: v_dual_mov_b32 v8, v2
	v_dual_mov_b32 v4, 0 :: v_dual_mov_b32 v7, v1
	s_add_nc_u64 s[12:13], s[10:11], 8
	s_mov_b64 s[14:15], 1
	s_wait_kmcnt 0x0
	s_add_nc_u64 s[16:17], s[2:3], 8
	s_mov_b32 s3, 0
.LBB0_2:                                ; =>This Inner Loop Header: Depth=1
	s_load_b64 s[18:19], s[16:17], 0x0
                                        ; implicit-def: $vgpr9_vgpr10
	s_mov_b32 s2, exec_lo
	s_wait_kmcnt 0x0
	v_or_b32_e32 v6, s19, v8
	s_delay_alu instid0(VALU_DEP_1)
	v_cmpx_ne_u64_e32 0, v[5:6]
	s_wait_alu 0xfffe
	s_xor_b32 s20, exec_lo, s2
	s_cbranch_execz .LBB0_4
; %bb.3:                                ;   in Loop: Header=BB0_2 Depth=1
	s_cvt_f32_u32 s2, s18
	s_cvt_f32_u32 s21, s19
	s_sub_nc_u64 s[24:25], 0, s[18:19]
	s_wait_alu 0xfffe
	s_delay_alu instid0(SALU_CYCLE_1) | instskip(SKIP_1) | instid1(SALU_CYCLE_2)
	s_fmamk_f32 s2, s21, 0x4f800000, s2
	s_wait_alu 0xfffe
	v_s_rcp_f32 s2, s2
	s_delay_alu instid0(TRANS32_DEP_1) | instskip(SKIP_1) | instid1(SALU_CYCLE_2)
	s_mul_f32 s2, s2, 0x5f7ffffc
	s_wait_alu 0xfffe
	s_mul_f32 s21, s2, 0x2f800000
	s_wait_alu 0xfffe
	s_delay_alu instid0(SALU_CYCLE_2) | instskip(SKIP_1) | instid1(SALU_CYCLE_2)
	s_trunc_f32 s21, s21
	s_wait_alu 0xfffe
	s_fmamk_f32 s2, s21, 0xcf800000, s2
	s_cvt_u32_f32 s23, s21
	s_wait_alu 0xfffe
	s_delay_alu instid0(SALU_CYCLE_1) | instskip(SKIP_1) | instid1(SALU_CYCLE_2)
	s_cvt_u32_f32 s22, s2
	s_wait_alu 0xfffe
	s_mul_u64 s[26:27], s[24:25], s[22:23]
	s_wait_alu 0xfffe
	s_mul_hi_u32 s29, s22, s27
	s_mul_i32 s28, s22, s27
	s_mul_hi_u32 s2, s22, s26
	s_mul_i32 s30, s23, s26
	s_wait_alu 0xfffe
	s_add_nc_u64 s[28:29], s[2:3], s[28:29]
	s_mul_hi_u32 s21, s23, s26
	s_mul_hi_u32 s31, s23, s27
	s_add_co_u32 s2, s28, s30
	s_wait_alu 0xfffe
	s_add_co_ci_u32 s2, s29, s21
	s_mul_i32 s26, s23, s27
	s_add_co_ci_u32 s27, s31, 0
	s_wait_alu 0xfffe
	s_add_nc_u64 s[26:27], s[2:3], s[26:27]
	s_wait_alu 0xfffe
	v_add_co_u32 v2, s2, s22, s26
	s_delay_alu instid0(VALU_DEP_1) | instskip(SKIP_1) | instid1(VALU_DEP_1)
	s_cmp_lg_u32 s2, 0
	s_add_co_ci_u32 s23, s23, s27
	v_readfirstlane_b32 s22, v2
	s_wait_alu 0xfffe
	s_delay_alu instid0(VALU_DEP_1)
	s_mul_u64 s[24:25], s[24:25], s[22:23]
	s_wait_alu 0xfffe
	s_mul_hi_u32 s27, s22, s25
	s_mul_i32 s26, s22, s25
	s_mul_hi_u32 s2, s22, s24
	s_mul_i32 s28, s23, s24
	s_wait_alu 0xfffe
	s_add_nc_u64 s[26:27], s[2:3], s[26:27]
	s_mul_hi_u32 s21, s23, s24
	s_mul_hi_u32 s22, s23, s25
	s_wait_alu 0xfffe
	s_add_co_u32 s2, s26, s28
	s_add_co_ci_u32 s2, s27, s21
	s_mul_i32 s24, s23, s25
	s_add_co_ci_u32 s25, s22, 0
	s_wait_alu 0xfffe
	s_add_nc_u64 s[24:25], s[2:3], s[24:25]
	s_wait_alu 0xfffe
	v_add_co_u32 v2, s2, v2, s24
	s_delay_alu instid0(VALU_DEP_1) | instskip(SKIP_1) | instid1(VALU_DEP_1)
	s_cmp_lg_u32 s2, 0
	s_add_co_ci_u32 s2, s23, s25
	v_mul_hi_u32 v6, v7, v2
	s_wait_alu 0xfffe
	v_mad_co_u64_u32 v[9:10], null, v7, s2, 0
	v_mad_co_u64_u32 v[11:12], null, v8, v2, 0
	;; [unrolled: 1-line block ×3, first 2 shown]
	s_delay_alu instid0(VALU_DEP_3) | instskip(SKIP_1) | instid1(VALU_DEP_4)
	v_add_co_u32 v2, vcc_lo, v6, v9
	s_wait_alu 0xfffd
	v_add_co_ci_u32_e32 v6, vcc_lo, 0, v10, vcc_lo
	s_delay_alu instid0(VALU_DEP_2) | instskip(SKIP_1) | instid1(VALU_DEP_2)
	v_add_co_u32 v2, vcc_lo, v2, v11
	s_wait_alu 0xfffd
	v_add_co_ci_u32_e32 v2, vcc_lo, v6, v12, vcc_lo
	s_wait_alu 0xfffd
	v_add_co_ci_u32_e32 v6, vcc_lo, 0, v14, vcc_lo
	s_delay_alu instid0(VALU_DEP_2) | instskip(SKIP_1) | instid1(VALU_DEP_2)
	v_add_co_u32 v2, vcc_lo, v2, v13
	s_wait_alu 0xfffd
	v_add_co_ci_u32_e32 v6, vcc_lo, 0, v6, vcc_lo
	s_delay_alu instid0(VALU_DEP_2) | instskip(SKIP_1) | instid1(VALU_DEP_3)
	v_mul_lo_u32 v11, s19, v2
	v_mad_co_u64_u32 v[9:10], null, s18, v2, 0
	v_mul_lo_u32 v12, s18, v6
	s_delay_alu instid0(VALU_DEP_2) | instskip(NEXT) | instid1(VALU_DEP_2)
	v_sub_co_u32 v9, vcc_lo, v7, v9
	v_add3_u32 v10, v10, v12, v11
	s_delay_alu instid0(VALU_DEP_1) | instskip(SKIP_1) | instid1(VALU_DEP_1)
	v_sub_nc_u32_e32 v11, v8, v10
	s_wait_alu 0xfffd
	v_subrev_co_ci_u32_e64 v11, s2, s19, v11, vcc_lo
	v_add_co_u32 v12, s2, v2, 2
	s_wait_alu 0xf1ff
	v_add_co_ci_u32_e64 v13, s2, 0, v6, s2
	v_sub_co_u32 v14, s2, v9, s18
	v_sub_co_ci_u32_e32 v10, vcc_lo, v8, v10, vcc_lo
	s_wait_alu 0xf1ff
	v_subrev_co_ci_u32_e64 v11, s2, 0, v11, s2
	s_delay_alu instid0(VALU_DEP_3) | instskip(NEXT) | instid1(VALU_DEP_3)
	v_cmp_le_u32_e32 vcc_lo, s18, v14
	v_cmp_eq_u32_e64 s2, s19, v10
	s_wait_alu 0xfffd
	v_cndmask_b32_e64 v14, 0, -1, vcc_lo
	v_cmp_le_u32_e32 vcc_lo, s19, v11
	s_wait_alu 0xfffd
	v_cndmask_b32_e64 v15, 0, -1, vcc_lo
	v_cmp_le_u32_e32 vcc_lo, s18, v9
	;; [unrolled: 3-line block ×3, first 2 shown]
	s_wait_alu 0xfffd
	v_cndmask_b32_e64 v16, 0, -1, vcc_lo
	v_cmp_eq_u32_e32 vcc_lo, s19, v11
	s_wait_alu 0xf1ff
	s_delay_alu instid0(VALU_DEP_2)
	v_cndmask_b32_e64 v9, v16, v9, s2
	s_wait_alu 0xfffd
	v_cndmask_b32_e32 v11, v15, v14, vcc_lo
	v_add_co_u32 v14, vcc_lo, v2, 1
	s_wait_alu 0xfffd
	v_add_co_ci_u32_e32 v15, vcc_lo, 0, v6, vcc_lo
	s_delay_alu instid0(VALU_DEP_3) | instskip(SKIP_1) | instid1(VALU_DEP_2)
	v_cmp_ne_u32_e32 vcc_lo, 0, v11
	s_wait_alu 0xfffd
	v_dual_cndmask_b32 v10, v15, v13 :: v_dual_cndmask_b32 v11, v14, v12
	v_cmp_ne_u32_e32 vcc_lo, 0, v9
	s_wait_alu 0xfffd
	s_delay_alu instid0(VALU_DEP_2) | instskip(NEXT) | instid1(VALU_DEP_3)
	v_cndmask_b32_e32 v10, v6, v10, vcc_lo
	v_cndmask_b32_e32 v9, v2, v11, vcc_lo
.LBB0_4:                                ;   in Loop: Header=BB0_2 Depth=1
	s_wait_alu 0xfffe
	s_and_not1_saveexec_b32 s2, s20
	s_cbranch_execz .LBB0_6
; %bb.5:                                ;   in Loop: Header=BB0_2 Depth=1
	v_cvt_f32_u32_e32 v2, s18
	s_sub_co_i32 s20, 0, s18
	s_delay_alu instid0(VALU_DEP_1) | instskip(NEXT) | instid1(TRANS32_DEP_1)
	v_rcp_iflag_f32_e32 v2, v2
	v_mul_f32_e32 v2, 0x4f7ffffe, v2
	s_delay_alu instid0(VALU_DEP_1) | instskip(SKIP_1) | instid1(VALU_DEP_1)
	v_cvt_u32_f32_e32 v2, v2
	s_wait_alu 0xfffe
	v_mul_lo_u32 v6, s20, v2
	s_delay_alu instid0(VALU_DEP_1) | instskip(NEXT) | instid1(VALU_DEP_1)
	v_mul_hi_u32 v6, v2, v6
	v_add_nc_u32_e32 v2, v2, v6
	s_delay_alu instid0(VALU_DEP_1) | instskip(NEXT) | instid1(VALU_DEP_1)
	v_mul_hi_u32 v2, v7, v2
	v_mul_lo_u32 v6, v2, s18
	v_add_nc_u32_e32 v9, 1, v2
	s_delay_alu instid0(VALU_DEP_2) | instskip(NEXT) | instid1(VALU_DEP_1)
	v_sub_nc_u32_e32 v6, v7, v6
	v_subrev_nc_u32_e32 v10, s18, v6
	v_cmp_le_u32_e32 vcc_lo, s18, v6
	s_wait_alu 0xfffd
	s_delay_alu instid0(VALU_DEP_2) | instskip(SKIP_2) | instid1(VALU_DEP_3)
	v_cndmask_b32_e32 v6, v6, v10, vcc_lo
	v_mov_b32_e32 v10, v5
	v_cndmask_b32_e32 v2, v2, v9, vcc_lo
	v_cmp_le_u32_e32 vcc_lo, s18, v6
	s_delay_alu instid0(VALU_DEP_2) | instskip(SKIP_1) | instid1(VALU_DEP_1)
	v_add_nc_u32_e32 v9, 1, v2
	s_wait_alu 0xfffd
	v_cndmask_b32_e32 v9, v2, v9, vcc_lo
.LBB0_6:                                ;   in Loop: Header=BB0_2 Depth=1
	s_wait_alu 0xfffe
	s_or_b32 exec_lo, exec_lo, s2
	s_load_b64 s[20:21], s[12:13], 0x0
	v_mul_lo_u32 v2, v10, s18
	v_mul_lo_u32 v6, v9, s19
	v_mad_co_u64_u32 v[11:12], null, v9, s18, 0
	s_add_nc_u64 s[14:15], s[14:15], 1
	s_add_nc_u64 s[12:13], s[12:13], 8
	s_wait_alu 0xfffe
	v_cmp_ge_u64_e64 s2, s[14:15], s[6:7]
	s_add_nc_u64 s[16:17], s[16:17], 8
	s_delay_alu instid0(VALU_DEP_2) | instskip(NEXT) | instid1(VALU_DEP_3)
	v_add3_u32 v2, v12, v6, v2
	v_sub_co_u32 v6, vcc_lo, v7, v11
	s_wait_alu 0xfffd
	s_delay_alu instid0(VALU_DEP_2) | instskip(SKIP_3) | instid1(VALU_DEP_2)
	v_sub_co_ci_u32_e32 v2, vcc_lo, v8, v2, vcc_lo
	s_and_b32 vcc_lo, exec_lo, s2
	s_wait_kmcnt 0x0
	v_mul_lo_u32 v7, s21, v6
	v_mul_lo_u32 v2, s20, v2
	v_mad_co_u64_u32 v[3:4], null, s20, v6, v[3:4]
	s_delay_alu instid0(VALU_DEP_1)
	v_add3_u32 v4, v7, v4, v2
	s_wait_alu 0xfffe
	s_cbranch_vccnz .LBB0_8
; %bb.7:                                ;   in Loop: Header=BB0_2 Depth=1
	v_dual_mov_b32 v7, v9 :: v_dual_mov_b32 v8, v10
	s_branch .LBB0_2
.LBB0_8:
	v_mul_hi_u32 v2, 0x24924925, v1
	s_lshl_b64 s[2:3], s[6:7], 3
	s_load_b64 s[0:1], s[0:1], 0x20
	s_add_nc_u64 s[2:3], s[10:11], s[2:3]
	s_load_b64 s[2:3], s[2:3], 0x0
	s_delay_alu instid0(VALU_DEP_1) | instskip(NEXT) | instid1(VALU_DEP_1)
	v_sub_nc_u32_e32 v5, v1, v2
	v_lshrrev_b32_e32 v5, 1, v5
	s_delay_alu instid0(VALU_DEP_1) | instskip(SKIP_3) | instid1(VALU_DEP_3)
	v_add_nc_u32_e32 v2, v5, v2
	v_mul_hi_u32 v5, 0xf0f0f10, v0
	s_wait_kmcnt 0x0
	v_cmp_gt_u64_e32 vcc_lo, s[0:1], v[9:10]
	v_lshrrev_b32_e32 v2, 2, v2
	v_mul_lo_u32 v7, s2, v10
	v_mul_lo_u32 v8, s3, v9
	s_delay_alu instid0(VALU_DEP_3) | instskip(SKIP_2) | instid1(VALU_DEP_1)
	v_mul_lo_u32 v6, v2, 7
	v_mad_co_u64_u32 v[2:3], null, s2, v9, v[3:4]
	v_mul_u32_u24_e32 v4, 17, v5
	v_sub_nc_u32_e32 v32, v0, v4
	s_delay_alu instid0(VALU_DEP_4) | instskip(NEXT) | instid1(VALU_DEP_4)
	v_sub_nc_u32_e32 v1, v1, v6
	v_add3_u32 v3, v8, v3, v7
	s_delay_alu instid0(VALU_DEP_3) | instskip(NEXT) | instid1(VALU_DEP_3)
	v_lshlrev_b32_e32 v47, 3, v32
	v_mul_u32_u24_e32 v1, 0xcd, v1
	s_delay_alu instid0(VALU_DEP_3) | instskip(NEXT) | instid1(VALU_DEP_2)
	v_lshlrev_b64_e32 v[34:35], 3, v[2:3]
	v_lshlrev_b32_e32 v49, 3, v1
	s_and_saveexec_b32 s1, vcc_lo
	s_cbranch_execz .LBB0_10
; %bb.9:
	v_mov_b32_e32 v33, 0
	s_delay_alu instid0(VALU_DEP_3) | instskip(SKIP_2) | instid1(VALU_DEP_3)
	v_add_co_u32 v2, s0, s8, v34
	s_wait_alu 0xf1ff
	v_add_co_ci_u32_e64 v3, s0, s9, v35, s0
	v_lshlrev_b64_e32 v[0:1], 3, v[32:33]
	v_add3_u32 v24, 0, v49, v47
	s_delay_alu instid0(VALU_DEP_2) | instskip(SKIP_1) | instid1(VALU_DEP_3)
	v_add_co_u32 v0, s0, v2, v0
	s_wait_alu 0xf1ff
	v_add_co_ci_u32_e64 v1, s0, v3, v1, s0
	s_clause 0xb
	global_load_b64 v[2:3], v[0:1], off
	global_load_b64 v[4:5], v[0:1], off offset:136
	global_load_b64 v[6:7], v[0:1], off offset:272
	;; [unrolled: 1-line block ×11, first 2 shown]
	s_wait_loadcnt 0xa
	ds_store_2addr_b64 v24, v[2:3], v[4:5] offset1:17
	s_wait_loadcnt 0x8
	ds_store_2addr_b64 v24, v[6:7], v[8:9] offset0:34 offset1:51
	s_wait_loadcnt 0x6
	ds_store_2addr_b64 v24, v[10:11], v[12:13] offset0:68 offset1:85
	;; [unrolled: 2-line block ×5, first 2 shown]
.LBB0_10:
	s_wait_alu 0xfffe
	s_or_b32 exec_lo, exec_lo, s1
	v_add_nc_u32_e32 v33, 0, v49
	v_add_nc_u32_e32 v0, 0, v47
	global_wb scope:SCOPE_SE
	s_wait_dscnt 0x0
	s_barrier_signal -1
	s_barrier_wait -1
	v_add_nc_u32_e32 v46, v33, v47
	v_add_nc_u32_e32 v48, v0, v49
	global_inv scope:SCOPE_SE
	s_mov_b32 s1, exec_lo
	ds_load_b64 v[36:37], v46
	ds_load_2addr_b64 v[28:31], v48 offset0:12 offset1:24
	ds_load_2addr_b64 v[24:27], v48 offset0:36 offset1:48
	;; [unrolled: 1-line block ×8, first 2 shown]
	global_wb scope:SCOPE_SE
	s_wait_dscnt 0x0
	s_barrier_signal -1
	s_barrier_wait -1
	global_inv scope:SCOPE_SE
	v_cmpx_gt_u32_e32 12, v32
	s_cbranch_execz .LBB0_12
; %bb.11:
	v_dual_add_f32 v55, v3, v29 :: v_dual_sub_f32 v70, v28, v2
	v_dual_add_f32 v54, v1, v31 :: v_dual_sub_f32 v69, v30, v0
	;; [unrolled: 1-line block ×3, first 2 shown]
	s_delay_alu instid0(VALU_DEP_3) | instskip(NEXT) | instid1(VALU_DEP_3)
	v_dual_mul_f32 v40, 0xbf59a7d5, v55 :: v_dual_add_f32 v51, v11, v21
	v_dual_mul_f32 v42, 0x3ee437d1, v54 :: v_dual_add_f32 v53, v9, v23
	s_delay_alu instid0(VALU_DEP_3) | instskip(NEXT) | instid1(VALU_DEP_3)
	v_dual_sub_f32 v68, v24, v6 :: v_dual_mul_f32 v43, 0x3dbcf732, v52
	v_dual_fmamk_f32 v38, v70, 0x3f06c442, v40 :: v_dual_sub_f32 v73, v29, v3
	v_add_f32_e32 v50, v5, v27
	s_delay_alu instid0(VALU_DEP_4) | instskip(NEXT) | instid1(VALU_DEP_3)
	v_dual_sub_f32 v66, v26, v4 :: v_dual_fmamk_f32 v39, v69, 0xbf65296c, v42
	v_dual_add_f32 v38, v37, v38 :: v_dual_add_f32 v57, v2, v28
	v_fmamk_f32 v41, v68, 0x3f7ee86f, v43
	s_delay_alu instid0(VALU_DEP_4) | instskip(NEXT) | instid1(VALU_DEP_3)
	v_dual_mul_f32 v44, 0xbf1a4643, v50 :: v_dual_sub_f32 v75, v25, v7
	v_dual_add_f32 v38, v39, v38 :: v_dual_mul_f32 v45, 0x3f6eb680, v51
	v_dual_mul_f32 v82, 0xbf06c442, v73 :: v_dual_sub_f32 v71, v22, v8
	s_delay_alu instid0(VALU_DEP_2) | instskip(NEXT) | instid1(VALU_DEP_2)
	v_dual_fmamk_f32 v39, v66, 0xbf4c4adb, v44 :: v_dual_add_f32 v38, v41, v38
	v_dual_add_f32 v59, v6, v24 :: v_dual_fmamk_f32 v56, v57, 0xbf59a7d5, v82
	v_sub_f32_e32 v74, v31, v1
	v_dual_add_f32 v58, v0, v30 :: v_dual_fmamk_f32 v41, v67, 0x3eb8f4ab, v45
	s_delay_alu instid0(VALU_DEP_4) | instskip(NEXT) | instid1(VALU_DEP_4)
	v_dual_add_f32 v38, v39, v38 :: v_dual_mul_f32 v85, 0xbf7ee86f, v75
	v_add_f32_e32 v39, v36, v56
	s_delay_alu instid0(VALU_DEP_4) | instskip(NEXT) | instid1(VALU_DEP_3)
	v_dual_mul_f32 v83, 0x3f65296c, v74 :: v_dual_sub_f32 v76, v27, v5
	v_dual_add_f32 v61, v4, v26 :: v_dual_fmamk_f32 v60, v59, 0x3dbcf732, v85
	s_delay_alu instid0(VALU_DEP_2) | instskip(SKIP_3) | instid1(VALU_DEP_4)
	v_dual_sub_f32 v77, v21, v11 :: v_dual_fmamk_f32 v56, v58, 0x3ee437d1, v83
	v_mul_f32_e32 v84, 0xbf7ba420, v53
	v_fmac_f32_e32 v40, 0xbf06c442, v70
	v_mul_f32_e32 v104, 0xbf06c442, v75
	v_dual_add_f32 v62, v10, v20 :: v_dual_add_f32 v39, v56, v39
	s_delay_alu instid0(VALU_DEP_4) | instskip(SKIP_1) | instid1(VALU_DEP_3)
	v_dual_add_f32 v38, v41, v38 :: v_dual_fmamk_f32 v41, v71, 0x3e3c28d5, v84
	v_dual_mul_f32 v87, 0x3f4c4adb, v76 :: v_dual_add_f32 v56, v15, v17
	v_add_f32_e32 v39, v60, v39
	v_sub_f32_e32 v78, v16, v14
	s_delay_alu instid0(VALU_DEP_4) | instskip(NEXT) | instid1(VALU_DEP_4)
	v_add_f32_e32 v38, v41, v38
	v_fmamk_f32 v41, v61, 0xbf1a4643, v87
	v_mul_f32_e32 v88, 0xbeb8f4ab, v77
	v_mul_f32_e32 v89, 0x3f3d2fb0, v56
	v_dual_sub_f32 v79, v23, v9 :: v_dual_sub_f32 v80, v17, v15
	s_delay_alu instid0(VALU_DEP_4) | instskip(NEXT) | instid1(VALU_DEP_4)
	v_add_f32_e32 v39, v41, v39
	v_fmamk_f32 v41, v62, 0x3f6eb680, v88
	s_delay_alu instid0(VALU_DEP_4) | instskip(NEXT) | instid1(VALU_DEP_4)
	v_dual_fmamk_f32 v86, v78, 0xbf2c7751, v89 :: v_dual_add_f32 v63, v8, v22
	v_mul_f32_e32 v90, 0xbe3c28d5, v79
	v_add_f32_e32 v60, v13, v19
	s_delay_alu instid0(VALU_DEP_4) | instskip(SKIP_1) | instid1(VALU_DEP_4)
	v_dual_add_f32 v39, v41, v39 :: v_dual_add_f32 v64, v14, v16
	v_dual_mul_f32 v91, 0x3f2c7751, v80 :: v_dual_sub_f32 v72, v19, v13
	v_fmamk_f32 v41, v63, 0xbf7ba420, v90
	s_delay_alu instid0(VALU_DEP_4) | instskip(SKIP_2) | instid1(VALU_DEP_4)
	v_mul_f32_e32 v92, 0xbe8c1d8e, v60
	v_dual_mul_f32 v93, 0xbf7ba420, v55 :: v_dual_add_f32 v38, v86, v38
	v_add_f32_e32 v65, v12, v18
	v_dual_add_f32 v39, v41, v39 :: v_dual_mul_f32 v96, 0xbf763a35, v72
	s_delay_alu instid0(VALU_DEP_3) | instskip(SKIP_2) | instid1(VALU_DEP_4)
	v_fmamk_f32 v94, v70, 0x3e3c28d5, v93
	v_sub_f32_e32 v81, v18, v12
	v_dual_fmac_f32 v93, 0xbe3c28d5, v70 :: v_dual_fmac_f32 v84, 0xbe3c28d5, v71
	v_fmamk_f32 v99, v65, 0xbe8c1d8e, v96
	v_mul_f32_e32 v95, 0x3f6eb680, v54
	v_add_f32_e32 v94, v37, v94
	v_fmamk_f32 v86, v81, 0x3f763a35, v92
	v_dual_mul_f32 v98, 0xbf59a7d5, v52 :: v_dual_add_f32 v93, v37, v93
	s_delay_alu instid0(VALU_DEP_4)
	v_fmamk_f32 v97, v69, 0xbeb8f4ab, v95
	v_fmamk_f32 v41, v64, 0x3f3d2fb0, v91
	v_mul_f32_e32 v102, 0xbf1a4643, v51
	v_fmac_f32_e32 v42, 0x3f65296c, v69
	v_add_f32_e32 v40, v37, v40
	v_add_f32_e32 v94, v97, v94
	;; [unrolled: 1-line block ×4, first 2 shown]
	v_mul_f32_e32 v86, 0x3eb8f4ab, v74
	v_fmamk_f32 v97, v68, 0x3f06c442, v98
	v_fmac_f32_e32 v98, 0xbf06c442, v68
	v_fmamk_f32 v106, v59, 0xbf59a7d5, v104
	v_mul_f32_e32 v100, 0xbe3c28d5, v73
	v_fmamk_f32 v103, v58, 0x3f6eb680, v86
	v_fma_f32 v86, 0x3f6eb680, v58, -v86
	v_mul_f32_e32 v101, 0x3f3d2fb0, v50
	v_add_f32_e32 v94, v97, v94
	v_fmamk_f32 v38, v57, 0xbf7ba420, v100
	v_add_f32_e32 v42, v42, v40
	v_fma_f32 v82, 0xbf59a7d5, v57, -v82
	v_fmamk_f32 v97, v66, 0xbf2c7751, v101
	s_delay_alu instid0(VALU_DEP_4) | instskip(SKIP_1) | instid1(VALU_DEP_4)
	v_dual_fmac_f32 v43, 0xbf7ee86f, v68 :: v_dual_add_f32 v38, v36, v38
	v_fmac_f32_e32 v44, 0x3f4c4adb, v66
	v_add_f32_e32 v82, v36, v82
	s_delay_alu instid0(VALU_DEP_4) | instskip(SKIP_4) | instid1(VALU_DEP_4)
	v_dual_add_f32 v94, v97, v94 :: v_dual_fmamk_f32 v97, v67, 0x3f4c4adb, v102
	v_mul_f32_e32 v105, 0x3ee437d1, v53
	v_add_f32_e32 v103, v103, v38
	v_add_f32_e32 v42, v43, v42
	v_fma_f32 v83, 0x3ee437d1, v58, -v83
	v_dual_add_f32 v94, v97, v94 :: v_dual_fmamk_f32 v97, v71, 0xbf65296c, v105
	v_mul_f32_e32 v107, 0x3f2c7751, v76
	v_fmac_f32_e32 v105, 0x3f65296c, v71
	v_fmac_f32_e32 v92, 0xbf763a35, v81
	v_dual_mul_f32 v119, 0xbf4c4adb, v74 :: v_dual_mul_f32 v128, 0xbf4c4adb, v68
	v_dual_add_f32 v94, v97, v94 :: v_dual_mul_f32 v97, 0xbe8c1d8e, v56
	v_mul_f32_e32 v111, 0x3f4c4adb, v80
	v_dual_mul_f32 v113, 0x3f2c7751, v81 :: v_dual_mul_f32 v118, 0x3f2c7751, v67
	v_mul_f32_e32 v120, 0xbeb8f4ab, v71
	s_delay_alu instid0(VALU_DEP_4) | instskip(SKIP_3) | instid1(VALU_DEP_4)
	v_fmamk_f32 v108, v78, 0x3f763a35, v97
	v_mul_f32_e32 v115, 0x3f2c7751, v72
	v_mul_f32_e32 v121, 0x3e3c28d5, v75
	v_dual_mul_f32 v129, 0xbf7ee86f, v80 :: v_dual_mul_f32 v132, 0xbf7ee86f, v74
	v_add_f32_e32 v94, v108, v94
	v_add_f32_e32 v38, v99, v41
	v_fmac_f32_e32 v95, 0x3eb8f4ab, v69
	v_dual_mul_f32 v131, 0xbe3c28d5, v66 :: v_dual_mul_f32 v136, 0xbe3c28d5, v76
	v_dual_mul_f32 v135, 0x3f06c442, v67 :: v_dual_mul_f32 v138, 0x3f06c442, v77
	s_delay_alu instid0(VALU_DEP_3) | instskip(SKIP_2) | instid1(VALU_DEP_3)
	v_add_f32_e32 v93, v95, v93
	v_dual_mul_f32 v141, 0x3f65296c, v78 :: v_dual_mul_f32 v142, 0x3f65296c, v80
	v_add_f32_e32 v42, v44, v42
	v_dual_mul_f32 v110, 0xbf65296c, v70 :: v_dual_add_f32 v93, v98, v93
	v_add_f32_e32 v41, v106, v103
	v_fma_f32 v95, 0xbf7ba420, v57, -v100
	v_mul_f32_e32 v108, 0xbf763a35, v80
	v_mul_f32_e32 v103, 0xbf4c4adb, v77
	v_dual_mul_f32 v100, 0x3dbcf732, v60 :: v_dual_add_f32 v29, v37, v29
	s_delay_alu instid0(VALU_DEP_4) | instskip(NEXT) | instid1(VALU_DEP_4)
	v_add_f32_e32 v95, v36, v95
	v_fma_f32 v44, 0xbe8c1d8e, v64, -v108
	v_add_f32_e32 v28, v36, v28
	s_delay_alu instid0(VALU_DEP_4) | instskip(NEXT) | instid1(VALU_DEP_4)
	v_dual_mul_f32 v114, 0x3e3c28d5, v68 :: v_dual_add_f32 v29, v29, v31
	v_dual_add_f32 v86, v86, v95 :: v_dual_fmamk_f32 v99, v61, 0x3f3d2fb0, v107
	s_delay_alu instid0(VALU_DEP_3) | instskip(SKIP_2) | instid1(VALU_DEP_4)
	v_add_f32_e32 v28, v28, v30
	v_mul_f32_e32 v116, 0x3f763a35, v66
	v_mul_f32_e32 v122, 0xbf7ee86f, v78
	v_dual_mul_f32 v124, 0xbf2c7751, v70 :: v_dual_add_f32 v41, v99, v41
	v_fmamk_f32 v99, v62, 0xbf1a4643, v103
	v_fmac_f32_e32 v102, 0xbf4c4adb, v67
	v_dual_add_f32 v24, v28, v24 :: v_dual_add_f32 v25, v29, v25
	s_delay_alu instid0(VALU_DEP_3) | instskip(SKIP_2) | instid1(VALU_DEP_4)
	v_dual_mul_f32 v28, 0xbf763a35, v70 :: v_dual_add_f32 v41, v99, v41
	v_mul_f32_e32 v106, 0x3f65296c, v79
	v_fma_f32 v95, 0xbf59a7d5, v59, -v104
	v_dual_add_f32 v24, v24, v26 :: v_dual_add_f32 v25, v25, v27
	s_delay_alu instid0(VALU_DEP_4) | instskip(NEXT) | instid1(VALU_DEP_4)
	v_fmamk_f32 v26, v55, 0xbe8c1d8e, v28
	v_fmamk_f32 v99, v63, 0x3ee437d1, v106
	s_delay_alu instid0(VALU_DEP_4) | instskip(SKIP_2) | instid1(VALU_DEP_4)
	v_add_f32_e32 v86, v95, v86
	v_fma_f32 v95, 0x3f3d2fb0, v61, -v107
	v_dual_mul_f32 v29, 0x3f65296c, v81 :: v_dual_add_f32 v20, v24, v20
	v_dual_add_f32 v41, v99, v41 :: v_dual_add_f32 v24, v37, v26
	s_delay_alu instid0(VALU_DEP_3) | instskip(SKIP_3) | instid1(VALU_DEP_3)
	v_add_f32_e32 v86, v95, v86
	v_fma_f32 v95, 0xbf1a4643, v62, -v103
	v_fmamk_f32 v99, v64, 0xbe8c1d8e, v108
	v_dual_mul_f32 v27, 0x3f06c442, v69 :: v_dual_add_f32 v20, v20, v22
	v_dual_add_f32 v21, v25, v21 :: v_dual_add_f32 v86, v95, v86
	s_delay_alu instid0(VALU_DEP_3) | instskip(SKIP_4) | instid1(VALU_DEP_4)
	v_add_f32_e32 v98, v99, v41
	v_fma_f32 v95, 0x3ee437d1, v63, -v106
	v_fmamk_f32 v41, v81, 0xbf7ee86f, v100
	v_dual_fmamk_f32 v25, v54, 0xbf59a7d5, v27 :: v_dual_add_f32 v16, v20, v16
	v_mul_f32_e32 v26, 0x3f2c7751, v68
	v_add_f32_e32 v86, v95, v86
	s_delay_alu instid0(VALU_DEP_4) | instskip(SKIP_2) | instid1(VALU_DEP_4)
	v_dual_add_f32 v41, v41, v94 :: v_dual_mul_f32 v94, 0x3f7ee86f, v72
	v_fmac_f32_e32 v45, 0xbeb8f4ab, v67
	v_fmac_f32_e32 v100, 0x3f7ee86f, v81
	v_add_f32_e32 v44, v44, v86
	v_dual_add_f32 v24, v25, v24 :: v_dual_fmamk_f32 v25, v52, 0x3f3d2fb0, v26
	s_delay_alu instid0(VALU_DEP_4) | instskip(SKIP_4) | instid1(VALU_DEP_3)
	v_add_f32_e32 v42, v45, v42
	v_add_f32_e32 v45, v83, v82
	v_fma_f32 v82, 0x3dbcf732, v59, -v85
	v_fma_f32 v83, 0x3dbcf732, v65, -v94
	v_dual_fmac_f32 v101, 0x3f2c7751, v66 :: v_dual_add_f32 v24, v25, v24
	v_dual_add_f32 v16, v16, v18 :: v_dual_add_f32 v45, v82, v45
	v_add_f32_e32 v84, v84, v42
	s_delay_alu instid0(VALU_DEP_4) | instskip(SKIP_1) | instid1(VALU_DEP_4)
	v_dual_add_f32 v42, v83, v44 :: v_dual_mul_f32 v83, 0x3f763a35, v69
	v_fma_f32 v82, 0xbf1a4643, v61, -v87
	v_dual_add_f32 v93, v101, v93 :: v_dual_add_f32 v12, v16, v12
	v_mul_f32_e32 v108, 0x3f4c4adb, v78
	s_delay_alu instid0(VALU_DEP_4) | instskip(SKIP_4) | instid1(VALU_DEP_3)
	v_fmamk_f32 v85, v54, 0xbe8c1d8e, v83
	v_fmac_f32_e32 v89, 0x3f2c7751, v78
	v_dual_mul_f32 v86, 0xbf4c4adb, v70 :: v_dual_add_f32 v45, v82, v45
	v_fma_f32 v82, 0x3f6eb680, v62, -v88
	v_add_f32_e32 v93, v102, v93
	v_dual_add_f32 v87, v89, v84 :: v_dual_fmamk_f32 v44, v55, 0xbf1a4643, v86
	s_delay_alu instid0(VALU_DEP_3) | instskip(SKIP_1) | instid1(VALU_DEP_3)
	v_dual_fmamk_f32 v99, v65, 0x3dbcf732, v94 :: v_dual_add_f32 v82, v82, v45
	v_fma_f32 v88, 0xbf7ba420, v63, -v90
	v_dual_fmac_f32 v97, 0xbf763a35, v78 :: v_dual_add_f32 v44, v37, v44
	s_delay_alu instid0(VALU_DEP_4) | instskip(NEXT) | instid1(VALU_DEP_3)
	v_dual_mul_f32 v84, 0xbeb8f4ab, v68 :: v_dual_add_f32 v45, v92, v87
	v_add_f32_e32 v88, v88, v82
	v_fma_f32 v90, 0x3f3d2fb0, v64, -v91
	s_delay_alu instid0(VALU_DEP_3) | instskip(SKIP_1) | instid1(VALU_DEP_3)
	v_dual_add_f32 v44, v85, v44 :: v_dual_fmamk_f32 v89, v52, 0x3f6eb680, v84
	v_dual_add_f32 v93, v105, v93 :: v_dual_mul_f32 v82, 0x3f7ee86f, v67
	v_dual_add_f32 v88, v90, v88 :: v_dual_mul_f32 v85, 0xbf06c442, v66
	s_delay_alu instid0(VALU_DEP_3) | instskip(NEXT) | instid1(VALU_DEP_3)
	v_add_f32_e32 v44, v89, v44
	v_add_f32_e32 v43, v97, v93
	v_fma_f32 v90, 0xbe8c1d8e, v65, -v96
	v_mul_f32_e32 v95, 0xbeb8f4ab, v75
	v_fmamk_f32 v89, v50, 0xbf59a7d5, v85
	v_mul_f32_e32 v87, 0xbf4c4adb, v73
	v_mul_f32_e32 v96, 0xbe3c28d5, v78
	v_add_f32_e32 v40, v99, v98
	v_mul_f32_e32 v98, 0x3f7ee86f, v77
	v_add_f32_e32 v44, v89, v44
	v_fma_f32 v91, 0xbf1a4643, v57, -v87
	v_fmamk_f32 v89, v51, 0x3dbcf732, v82
	v_dual_mul_f32 v93, 0xbf2c7751, v71 :: v_dual_add_f32 v12, v12, v14
	v_add_f32_e32 v43, v100, v43
	s_delay_alu instid0(VALU_DEP_3) | instskip(SKIP_1) | instid1(VALU_DEP_4)
	v_dual_add_f32 v91, v36, v91 :: v_dual_add_f32 v44, v89, v44
	v_mul_f32_e32 v92, 0x3f763a35, v74
	v_dual_fmamk_f32 v89, v53, 0x3f3d2fb0, v93 :: v_dual_add_f32 v8, v12, v8
	v_mul_f32_e32 v12, 0xbe3c28d5, v77
	v_mul_f32_e32 v100, 0xbf7ee86f, v73
	s_delay_alu instid0(VALU_DEP_4) | instskip(NEXT) | instid1(VALU_DEP_4)
	v_fma_f32 v94, 0xbe8c1d8e, v58, -v92
	v_add_f32_e32 v31, v89, v44
	v_dual_add_f32 v44, v90, v88 :: v_dual_fmamk_f32 v89, v56, 0xbf7ba420, v96
	v_mul_f32_e32 v97, 0xbf06c442, v76
	s_delay_alu instid0(VALU_DEP_4) | instskip(SKIP_4) | instid1(VALU_DEP_4)
	v_add_f32_e32 v91, v94, v91
	v_fma_f32 v94, 0x3f6eb680, v59, -v95
	v_fma_f32 v88, 0x3dbcf732, v62, -v98
	v_add_f32_e32 v30, v89, v31
	v_dual_fmamk_f32 v90, v60, 0x3ee437d1, v29 :: v_dual_add_f32 v21, v21, v23
	v_add_f32_e32 v91, v94, v91
	v_fma_f32 v94, 0xbf59a7d5, v61, -v97
	v_mul_f32_e32 v89, 0xbf65296c, v66
	v_mul_f32_e32 v105, 0x3eb8f4ab, v76
	v_add_f32_e32 v17, v21, v17
	v_mul_f32_e32 v107, 0xbf65296c, v77
	v_add_f32_e32 v31, v94, v91
	v_fmamk_f32 v25, v50, 0x3ee437d1, v89
	v_mul_f32_e32 v21, 0xbf763a35, v73
	v_add_f32_e32 v17, v17, v19
	v_mul_f32_e32 v91, 0x3f7ee86f, v71
	v_add_f32_e32 v31, v88, v31
	v_mul_f32_e32 v88, 0xbf2c7751, v79
	v_fma_f32 v19, 0xbf7ba420, v62, -v12
	v_add_f32_e32 v13, v17, v13
	v_fma_f32 v83, 0xbe8c1d8e, v54, -v83
	v_fma_f32 v85, 0xbf59a7d5, v50, -v85
	;; [unrolled: 1-line block ×3, first 2 shown]
	v_mul_f32_e32 v23, 0xbe3c28d5, v80
	v_add_f32_e32 v13, v13, v15
	v_fmac_f32_e32 v87, 0xbf1a4643, v57
	v_fma_f32 v82, 0x3dbcf732, v51, -v82
	v_add_f32_e32 v22, v22, v31
	v_fma_f32 v31, 0xbf7ba420, v64, -v23
	v_add_f32_e32 v9, v13, v9
	v_mul_f32_e32 v13, 0xbf65296c, v76
	v_fma_f32 v26, 0x3f3d2fb0, v52, -v26
	v_fma_f32 v27, 0xbf59a7d5, v54, -v27
	v_add_f32_e32 v20, v31, v22
	v_add_f32_e32 v22, v25, v24
	v_mul_f32_e32 v24, 0xbe3c28d5, v67
	v_fma_f32 v18, 0xbe8c1d8e, v57, -v21
	v_mul_f32_e32 v25, 0x3f06c442, v74
	v_fmac_f32_e32 v95, 0x3f6eb680, v59
	v_dual_fmac_f32 v23, 0xbf7ba420, v64 :: v_dual_fmac_f32 v12, 0xbf7ba420, v62
	s_delay_alu instid0(VALU_DEP_4) | instskip(NEXT) | instid1(VALU_DEP_4)
	v_dual_fmamk_f32 v16, v51, 0xbf7ba420, v24 :: v_dual_add_f32 v17, v36, v18
	v_fma_f32 v18, 0xbf59a7d5, v58, -v25
	v_mul_f32_e32 v31, 0x3f2c7751, v75
	v_mul_f32_e32 v94, 0x3f65296c, v72
	s_delay_alu instid0(VALU_DEP_4) | instskip(NEXT) | instid1(VALU_DEP_4)
	v_add_f32_e32 v14, v16, v22
	v_dual_mul_f32 v22, 0xbeb8f4ab, v78 :: v_dual_add_f32 v15, v18, v17
	s_delay_alu instid0(VALU_DEP_4) | instskip(NEXT) | instid1(VALU_DEP_4)
	v_fma_f32 v16, 0x3f3d2fb0, v59, -v31
	v_fma_f32 v18, 0x3ee437d1, v65, -v94
	;; [unrolled: 1-line block ×3, first 2 shown]
	v_mul_f32_e32 v126, 0xbf7ee86f, v69
	s_delay_alu instid0(VALU_DEP_4) | instskip(SKIP_4) | instid1(VALU_DEP_4)
	v_dual_mul_f32 v144, 0x3eb8f4ab, v72 :: v_dual_add_f32 v15, v16, v15
	v_dual_add_f32 v16, v8, v10 :: v_dual_add_f32 v11, v9, v11
	v_fma_f32 v8, 0x3ee437d1, v61, -v13
	v_fmamk_f32 v17, v53, 0x3dbcf732, v91
	v_dual_mul_f32 v10, 0x3f7ee86f, v79 :: v_dual_add_f32 v9, v90, v30
	v_add_f32_e32 v4, v16, v4
	s_delay_alu instid0(VALU_DEP_4) | instskip(SKIP_2) | instid1(VALU_DEP_3)
	v_dual_add_f32 v15, v8, v15 :: v_dual_mul_f32 v30, 0xbf7ee86f, v70
	v_dual_add_f32 v5, v11, v5 :: v_dual_mul_f32 v90, 0xbeb8f4ab, v80
	v_add_f32_e32 v8, v18, v20
	v_dual_add_f32 v14, v17, v14 :: v_dual_add_f32 v15, v19, v15
	s_delay_alu instid0(VALU_DEP_3) | instskip(SKIP_2) | instid1(VALU_DEP_3)
	v_dual_add_f32 v4, v4, v6 :: v_dual_add_f32 v5, v5, v7
	v_fmamk_f32 v6, v55, 0x3dbcf732, v30
	v_fmamk_f32 v17, v56, 0x3f6eb680, v22
	v_dual_mul_f32 v11, 0xbf4c4adb, v81 :: v_dual_add_f32 v0, v4, v0
	s_delay_alu instid0(VALU_DEP_4) | instskip(NEXT) | instid1(VALU_DEP_4)
	v_add_f32_e32 v1, v5, v1
	v_add_f32_e32 v4, v37, v6
	v_mul_f32_e32 v6, 0xbf4c4adb, v72
	v_add_f32_e32 v14, v17, v14
	v_fma_f32 v17, 0x3dbcf732, v63, -v10
	v_add_f32_e32 v0, v0, v2
	v_fma_f32 v2, 0x3f6eb680, v64, -v90
	v_fma_f32 v16, 0xbf1a4643, v65, -v6
	v_add_f32_e32 v1, v1, v3
	v_add_f32_e32 v15, v17, v15
	v_mul_f32_e32 v7, 0xbe3c28d5, v69
	v_fma_f32 v19, 0x3dbcf732, v64, -v129
	v_mul_f32_e32 v123, 0x3f763a35, v76
	v_fmamk_f32 v20, v50, 0xbf7ba420, v131
	v_add_f32_e32 v2, v2, v15
	v_fmamk_f32 v5, v54, 0xbf7ba420, v7
	v_mul_f32_e32 v99, 0x3f763a35, v68
	v_fma_f32 v15, 0x3dbcf732, v57, -v100
	v_mul_f32_e32 v102, 0xbe3c28d5, v74
	s_delay_alu instid0(VALU_DEP_4) | instskip(NEXT) | instid1(VALU_DEP_4)
	v_dual_add_f32 v2, v16, v2 :: v_dual_add_f32 v3, v5, v4
	v_fmamk_f32 v4, v52, 0xbe8c1d8e, v99
	s_delay_alu instid0(VALU_DEP_4) | instskip(NEXT) | instid1(VALU_DEP_4)
	v_add_f32_e32 v15, v36, v15
	v_fma_f32 v18, 0xbf7ba420, v58, -v102
	v_mul_f32_e32 v74, 0xbf2c7751, v74
	v_mul_f32_e32 v70, 0xbeb8f4ab, v70
	v_dual_add_f32 v4, v4, v3 :: v_dual_mul_f32 v101, 0x3eb8f4ab, v66
	v_mul_f32_e32 v68, 0xbf65296c, v68
	s_delay_alu instid0(VALU_DEP_4)
	v_fma_f32 v146, 0x3f3d2fb0, v58, -v74
	v_mul_f32_e32 v76, 0xbf7ee86f, v76
	v_fma_f32 v22, 0x3f6eb680, v56, -v22
	v_fmamk_f32 v17, v50, 0x3f6eb680, v101
	v_fma_f32 v7, 0xbf7ba420, v54, -v7
	v_fmac_f32_e32 v129, 0x3dbcf732, v64
	v_fma_f32 v147, 0x3f6eb680, v65, -v144
	v_fmac_f32_e32 v144, 0x3f6eb680, v65
	v_dual_add_f32 v4, v17, v4 :: v_dual_fmamk_f32 v5, v60, 0xbf1a4643, v11
	v_mul_f32_e32 v104, 0xbf65296c, v67
	v_fma_f32 v17, 0xbf1a4643, v58, -v119
	v_mul_f32_e32 v109, 0xbf06c442, v79
	v_fma_f32 v11, 0xbf1a4643, v60, -v11
	v_add_f32_e32 v3, v5, v14
	v_add_f32_e32 v5, v18, v15
	v_fmamk_f32 v15, v51, 0x3ee437d1, v104
	v_mul_f32_e32 v106, 0xbf06c442, v71
	v_fmac_f32_e32 v119, 0xbf1a4643, v58
	v_fmac_f32_e32 v88, 0x3f3d2fb0, v63
	;; [unrolled: 1-line block ×3, first 2 shown]
	s_delay_alu instid0(VALU_DEP_4) | instskip(SKIP_3) | instid1(VALU_DEP_4)
	v_dual_add_f32 v4, v15, v4 :: v_dual_fmamk_f32 v15, v53, 0xbf59a7d5, v106
	v_fmac_f32_e32 v98, 0x3dbcf732, v62
	v_fmac_f32_e32 v102, 0xbf7ba420, v58
	;; [unrolled: 1-line block ×3, first 2 shown]
	v_dual_add_f32 v4, v15, v4 :: v_dual_fmamk_f32 v15, v56, 0xbf1a4643, v108
	s_delay_alu instid0(VALU_DEP_1) | instskip(NEXT) | instid1(VALU_DEP_1)
	v_dual_mul_f32 v103, 0x3f763a35, v75 :: v_dual_add_f32 v4, v15, v4
	v_fma_f32 v14, 0xbe8c1d8e, v59, -v103
	v_fmamk_f32 v15, v55, 0x3ee437d1, v110
	v_mul_f32_e32 v112, 0xbf4c4adb, v69
	v_mul_f32_e32 v69, 0xbf2c7751, v69
	s_delay_alu instid0(VALU_DEP_4) | instskip(SKIP_1) | instid1(VALU_DEP_4)
	v_add_f32_e32 v5, v14, v5
	v_fma_f32 v14, 0x3f6eb680, v61, -v105
	v_dual_add_f32 v15, v37, v15 :: v_dual_fmamk_f32 v16, v54, 0xbf1a4643, v112
	s_delay_alu instid0(VALU_DEP_4) | instskip(NEXT) | instid1(VALU_DEP_3)
	v_fmamk_f32 v145, v54, 0x3f3d2fb0, v69
	v_add_f32_e32 v5, v14, v5
	v_fma_f32 v14, 0x3ee437d1, v62, -v107
	s_delay_alu instid0(VALU_DEP_4) | instskip(SKIP_2) | instid1(VALU_DEP_4)
	v_add_f32_e32 v15, v16, v15
	v_fmamk_f32 v16, v52, 0xbf7ba420, v114
	v_fmac_f32_e32 v107, 0x3ee437d1, v62
	v_add_f32_e32 v5, v14, v5
	v_fma_f32 v14, 0xbf59a7d5, v63, -v109
	s_delay_alu instid0(VALU_DEP_4) | instskip(NEXT) | instid1(VALU_DEP_2)
	v_dual_add_f32 v15, v16, v15 :: v_dual_fmamk_f32 v16, v50, 0xbe8c1d8e, v116
	v_add_f32_e32 v5, v14, v5
	v_fma_f32 v14, 0xbf1a4643, v64, -v111
	s_delay_alu instid0(VALU_DEP_3) | instskip(NEXT) | instid1(VALU_DEP_2)
	v_dual_add_f32 v15, v16, v15 :: v_dual_fmamk_f32 v16, v51, 0x3f3d2fb0, v118
	v_dual_add_f32 v14, v14, v5 :: v_dual_fmamk_f32 v5, v60, 0x3f3d2fb0, v113
	s_delay_alu instid0(VALU_DEP_2) | instskip(NEXT) | instid1(VALU_DEP_2)
	v_dual_add_f32 v15, v16, v15 :: v_dual_fmamk_f32 v16, v53, 0x3f6eb680, v120
	v_add_f32_e32 v5, v5, v4
	v_fma_f32 v4, 0x3f3d2fb0, v65, -v115
	s_delay_alu instid0(VALU_DEP_3) | instskip(SKIP_1) | instid1(VALU_DEP_3)
	v_add_f32_e32 v15, v16, v15
	v_fmamk_f32 v16, v56, 0x3dbcf732, v122
	v_add_f32_e32 v4, v4, v14
	s_delay_alu instid0(VALU_DEP_2) | instskip(SKIP_1) | instid1(VALU_DEP_2)
	v_dual_add_f32 v15, v16, v15 :: v_dual_fmamk_f32 v16, v55, 0x3f3d2fb0, v124
	v_fmamk_f32 v18, v54, 0x3dbcf732, v126
	v_dual_add_f32 v16, v37, v16 :: v_dual_mul_f32 v117, 0xbf65296c, v73
	s_delay_alu instid0(VALU_DEP_1) | instskip(NEXT) | instid1(VALU_DEP_2)
	v_add_f32_e32 v16, v18, v16
	v_fma_f32 v14, 0x3ee437d1, v57, -v117
	v_fmamk_f32 v18, v52, 0xbf1a4643, v128
	v_mul_f32_e32 v125, 0x3f2c7751, v77
	s_delay_alu instid0(VALU_DEP_3) | instskip(NEXT) | instid1(VALU_DEP_3)
	v_dual_mul_f32 v77, 0xbf763a35, v77 :: v_dual_add_f32 v14, v36, v14
	v_dual_add_f32 v16, v18, v16 :: v_dual_mul_f32 v127, 0xbeb8f4ab, v79
	v_fma_f32 v18, 0x3dbcf732, v58, -v132
	v_fmac_f32_e32 v132, 0x3dbcf732, v58
	s_delay_alu instid0(VALU_DEP_4) | instskip(NEXT) | instid1(VALU_DEP_4)
	v_add_f32_e32 v14, v17, v14
	v_add_f32_e32 v16, v20, v16
	v_fma_f32 v17, 0xbf7ba420, v59, -v121
	v_fmamk_f32 v20, v51, 0xbf59a7d5, v135
	s_delay_alu instid0(VALU_DEP_2) | instskip(NEXT) | instid1(VALU_DEP_2)
	v_dual_mul_f32 v133, 0xbf06c442, v81 :: v_dual_add_f32 v14, v17, v14
	v_add_f32_e32 v16, v20, v16
	v_fma_f32 v17, 0xbe8c1d8e, v61, -v123
	s_delay_alu instid0(VALU_DEP_1) | instskip(SKIP_2) | instid1(VALU_DEP_2)
	v_dual_mul_f32 v139, 0x3f763a35, v71 :: v_dual_add_f32 v14, v17, v14
	v_fma_f32 v17, 0x3f3d2fb0, v62, -v125
	v_fmac_f32_e32 v125, 0x3f3d2fb0, v62
	v_add_f32_e32 v14, v17, v14
	v_fma_f32 v17, 0x3f6eb680, v63, -v127
	v_fmac_f32_e32 v115, 0x3f3d2fb0, v65
	v_fmac_f32_e32 v117, 0x3ee437d1, v57
	s_delay_alu instid0(VALU_DEP_3) | instskip(NEXT) | instid1(VALU_DEP_1)
	v_dual_fmac_f32 v127, 0x3f6eb680, v63 :: v_dual_add_f32 v14, v17, v14
	v_dual_add_f32 v14, v19, v14 :: v_dual_fmamk_f32 v19, v60, 0xbf59a7d5, v133
	v_mul_f32_e32 v137, 0xbf06c442, v72
	v_mul_f32_e32 v72, 0xbe3c28d5, v72
	v_fmac_f32_e32 v123, 0xbe8c1d8e, v61
	s_delay_alu instid0(VALU_DEP_4) | instskip(SKIP_2) | instid1(VALU_DEP_2)
	v_add_f32_e32 v15, v19, v15
	v_fmamk_f32 v19, v53, 0xbe8c1d8e, v139
	v_fma_f32 v20, 0xbf59a7d5, v65, -v137
	v_dual_add_f32 v16, v19, v16 :: v_dual_fmamk_f32 v19, v56, 0x3ee437d1, v141
	s_delay_alu instid0(VALU_DEP_2) | instskip(SKIP_1) | instid1(VALU_DEP_3)
	v_dual_mul_f32 v143, 0x3eb8f4ab, v81 :: v_dual_add_f32 v14, v20, v14
	v_mul_f32_e32 v81, 0xbe3c28d5, v81
	v_dual_fmac_f32 v137, 0xbf59a7d5, v65 :: v_dual_add_f32 v16, v19, v16
	v_fmamk_f32 v19, v55, 0x3f6eb680, v70
	v_mul_f32_e32 v130, 0xbf2c7751, v73
	v_mul_f32_e32 v73, 0xbeb8f4ab, v73
	s_delay_alu instid0(VALU_DEP_3) | instskip(NEXT) | instid1(VALU_DEP_3)
	v_add_f32_e32 v19, v37, v19
	v_fma_f32 v17, 0x3f3d2fb0, v57, -v130
	s_delay_alu instid0(VALU_DEP_3) | instskip(SKIP_1) | instid1(VALU_DEP_3)
	v_fma_f32 v20, 0x3f6eb680, v57, -v73
	v_fmac_f32_e32 v130, 0x3f3d2fb0, v57
	v_add_f32_e32 v17, v36, v17
	s_delay_alu instid0(VALU_DEP_1) | instskip(SKIP_1) | instid1(VALU_DEP_2)
	v_dual_add_f32 v20, v36, v20 :: v_dual_add_f32 v17, v18, v17
	v_mul_f32_e32 v134, 0xbf4c4adb, v75
	v_dual_mul_f32 v75, 0xbf65296c, v75 :: v_dual_add_f32 v20, v146, v20
	s_delay_alu instid0(VALU_DEP_2) | instskip(NEXT) | instid1(VALU_DEP_2)
	v_fma_f32 v18, 0xbf1a4643, v59, -v134
	v_fma_f32 v146, 0x3ee437d1, v59, -v75
	v_fmac_f32_e32 v75, 0x3ee437d1, v59
	s_delay_alu instid0(VALU_DEP_3) | instskip(SKIP_1) | instid1(VALU_DEP_4)
	v_add_f32_e32 v17, v18, v17
	v_fma_f32 v18, 0xbf7ba420, v61, -v136
	v_add_f32_e32 v20, v146, v20
	v_fma_f32 v146, 0x3dbcf732, v61, -v76
	s_delay_alu instid0(VALU_DEP_3) | instskip(SKIP_2) | instid1(VALU_DEP_4)
	v_dual_fmac_f32 v134, 0xbf1a4643, v59 :: v_dual_add_f32 v17, v18, v17
	v_fma_f32 v18, 0xbf59a7d5, v62, -v138
	v_mul_f32_e32 v140, 0x3f763a35, v79
	v_add_f32_e32 v20, v146, v20
	v_fma_f32 v146, 0xbe8c1d8e, v62, -v77
	s_delay_alu instid0(VALU_DEP_4) | instskip(NEXT) | instid1(VALU_DEP_4)
	v_add_f32_e32 v17, v18, v17
	v_fma_f32 v18, 0xbe8c1d8e, v63, -v140
	s_delay_alu instid0(VALU_DEP_3) | instskip(NEXT) | instid1(VALU_DEP_2)
	v_add_f32_e32 v20, v146, v20
	v_add_f32_e32 v17, v18, v17
	v_fma_f32 v18, 0x3ee437d1, v64, -v142
	v_fmac_f32_e32 v142, 0x3ee437d1, v64
	s_delay_alu instid0(VALU_DEP_2) | instskip(NEXT) | instid1(VALU_DEP_1)
	v_dual_add_f32 v18, v18, v17 :: v_dual_fmamk_f32 v17, v60, 0x3f6eb680, v143
	v_dual_add_f32 v17, v17, v16 :: v_dual_add_f32 v16, v147, v18
	v_add_f32_e32 v19, v145, v19
	v_fmamk_f32 v145, v52, 0x3ee437d1, v68
	v_fma_f32 v18, 0xbf1a4643, v55, -v86
	s_delay_alu instid0(VALU_DEP_2) | instskip(SKIP_1) | instid1(VALU_DEP_3)
	v_dual_fmamk_f32 v86, v60, 0xbf7ba420, v81 :: v_dual_add_f32 v19, v145, v19
	v_mul_f32_e32 v66, 0xbf7ee86f, v66
	v_dual_add_f32 v18, v37, v18 :: v_dual_mul_f32 v71, 0xbf4c4adb, v71
	s_delay_alu instid0(VALU_DEP_1) | instskip(SKIP_3) | instid1(VALU_DEP_4)
	v_dual_fmamk_f32 v145, v50, 0x3dbcf732, v66 :: v_dual_add_f32 v18, v83, v18
	v_fma_f32 v83, 0x3f6eb680, v52, -v84
	v_fma_f32 v84, 0xbf7ba420, v65, -v72
	v_mul_f32_e32 v79, 0xbf4c4adb, v79
	v_dual_add_f32 v19, v145, v19 :: v_dual_fmac_f32 v72, 0xbf7ba420, v65
	s_delay_alu instid0(VALU_DEP_4) | instskip(NEXT) | instid1(VALU_DEP_3)
	v_add_f32_e32 v83, v83, v18
	v_fma_f32 v146, 0xbf1a4643, v63, -v79
	v_mul_f32_e32 v67, 0xbf763a35, v67
	s_delay_alu instid0(VALU_DEP_3) | instskip(NEXT) | instid1(VALU_DEP_3)
	v_add_f32_e32 v83, v85, v83
	v_dual_fmac_f32 v97, 0xbf59a7d5, v61 :: v_dual_add_f32 v20, v146, v20
	s_delay_alu instid0(VALU_DEP_2) | instskip(SKIP_2) | instid1(VALU_DEP_3)
	v_dual_fmamk_f32 v145, v51, 0xbe8c1d8e, v67 :: v_dual_add_f32 v82, v82, v83
	v_add_f32_e32 v87, v36, v87
	v_fma_f32 v83, 0x3f3d2fb0, v53, -v93
	v_add_f32_e32 v19, v145, v19
	v_fmamk_f32 v145, v53, 0xbf1a4643, v71
	s_delay_alu instid0(VALU_DEP_1) | instskip(NEXT) | instid1(VALU_DEP_1)
	v_dual_mul_f32 v78, 0xbf06c442, v78 :: v_dual_add_f32 v19, v145, v19
	v_fmamk_f32 v145, v56, 0xbf59a7d5, v78
	s_delay_alu instid0(VALU_DEP_1) | instskip(NEXT) | instid1(VALU_DEP_1)
	v_dual_mul_f32 v80, 0xbf06c442, v80 :: v_dual_add_f32 v19, v145, v19
	v_fma_f32 v146, 0xbf59a7d5, v64, -v80
	s_delay_alu instid0(VALU_DEP_2) | instskip(NEXT) | instid1(VALU_DEP_2)
	v_dual_fmac_f32 v80, 0xbf59a7d5, v64 :: v_dual_add_f32 v19, v86, v19
	v_add_f32_e32 v20, v146, v20
	v_dual_add_f32 v86, v92, v87 :: v_dual_fmac_f32 v77, 0xbe8c1d8e, v62
	s_delay_alu instid0(VALU_DEP_2) | instskip(SKIP_3) | instid1(VALU_DEP_3)
	v_add_f32_e32 v18, v84, v20
	v_fma_f32 v20, 0xbe8c1d8e, v55, -v28
	v_fmac_f32_e32 v79, 0xbf1a4643, v63
	v_fmac_f32_e32 v76, 0x3dbcf732, v61
	v_add_f32_e32 v20, v37, v20
	s_delay_alu instid0(VALU_DEP_1) | instskip(SKIP_1) | instid1(VALU_DEP_2)
	v_add_f32_e32 v20, v27, v20
	v_add_f32_e32 v28, v95, v86
	v_add_f32_e32 v20, v26, v20
	s_delay_alu instid0(VALU_DEP_2) | instskip(SKIP_2) | instid1(VALU_DEP_3)
	v_add_f32_e32 v28, v97, v28
	v_fma_f32 v26, 0x3ee437d1, v50, -v89
	v_fmac_f32_e32 v21, 0xbe8c1d8e, v57
	v_dual_add_f32 v27, v98, v28 :: v_dual_add_f32 v28, v83, v82
	v_fma_f32 v82, 0xbf7ba420, v56, -v96
	s_delay_alu instid0(VALU_DEP_4) | instskip(SKIP_1) | instid1(VALU_DEP_4)
	v_add_f32_e32 v20, v26, v20
	v_fma_f32 v26, 0x3ee437d1, v60, -v29
	v_add_f32_e32 v27, v88, v27
	v_fma_f32 v29, 0xbf7ba420, v60, -v81
	v_add_f32_e32 v28, v82, v28
	v_add_f32_e32 v20, v24, v20
	v_fma_f32 v24, 0x3dbcf732, v53, -v91
	v_dual_add_f32 v23, v23, v27 :: v_dual_fmac_f32 v94, 0x3ee437d1, v65
	v_add_f32_e32 v27, v36, v21
	s_delay_alu instid0(VALU_DEP_3) | instskip(SKIP_1) | instid1(VALU_DEP_4)
	v_dual_fmac_f32 v25, 0xbf59a7d5, v58 :: v_dual_add_f32 v24, v24, v20
	v_add_f32_e32 v21, v26, v28
	v_add_f32_e32 v20, v94, v23
	v_fma_f32 v23, 0x3dbcf732, v55, -v30
	s_delay_alu instid0(VALU_DEP_4) | instskip(SKIP_1) | instid1(VALU_DEP_3)
	v_dual_add_f32 v25, v25, v27 :: v_dual_add_f32 v22, v22, v24
	v_fmac_f32_e32 v100, 0x3dbcf732, v57
	v_dual_fmac_f32 v6, 0xbf1a4643, v65 :: v_dual_add_f32 v23, v37, v23
	v_fmac_f32_e32 v31, 0x3f3d2fb0, v59
	v_fma_f32 v27, 0x3f6eb680, v60, -v143
	s_delay_alu instid0(VALU_DEP_4) | instskip(SKIP_3) | instid1(VALU_DEP_1)
	v_add_f32_e32 v24, v36, v100
	v_fmac_f32_e32 v10, 0x3dbcf732, v63
	v_fmac_f32_e32 v13, 0x3ee437d1, v61
	v_add_f32_e32 v25, v31, v25
	v_add_f32_e32 v13, v13, v25
	;; [unrolled: 1-line block ×3, first 2 shown]
	v_fma_f32 v23, 0xbe8c1d8e, v52, -v99
	v_fma_f32 v25, 0x3f6eb680, v55, -v70
	s_delay_alu instid0(VALU_DEP_4) | instskip(SKIP_1) | instid1(VALU_DEP_2)
	v_dual_add_f32 v12, v12, v13 :: v_dual_add_f32 v13, v102, v24
	v_fma_f32 v24, 0x3dbcf732, v54, -v126
	v_dual_add_f32 v10, v10, v12 :: v_dual_fmac_f32 v103, 0xbe8c1d8e, v59
	s_delay_alu instid0(VALU_DEP_1) | instskip(NEXT) | instid1(VALU_DEP_2)
	v_add_f32_e32 v10, v90, v10
	v_add_f32_e32 v12, v103, v13
	v_fmac_f32_e32 v105, 0x3f6eb680, v61
	v_fma_f32 v13, 0x3ee437d1, v51, -v104
	s_delay_alu instid0(VALU_DEP_4) | instskip(NEXT) | instid1(VALU_DEP_3)
	v_dual_add_f32 v6, v6, v10 :: v_dual_add_f32 v7, v23, v7
	v_add_f32_e32 v12, v105, v12
	v_fma_f32 v23, 0x3f6eb680, v50, -v101
	v_fma_f32 v10, 0x3ee437d1, v55, -v110
	v_fmac_f32_e32 v111, 0xbf1a4643, v64
	s_delay_alu instid0(VALU_DEP_3) | instskip(SKIP_1) | instid1(VALU_DEP_4)
	v_add_f32_e32 v7, v23, v7
	v_fma_f32 v23, 0xbf59a7d5, v53, -v106
	v_add_f32_e32 v10, v37, v10
	s_delay_alu instid0(VALU_DEP_3)
	v_add_f32_e32 v13, v13, v7
	v_add_f32_e32 v7, v11, v22
	;; [unrolled: 1-line block ×3, first 2 shown]
	v_fmac_f32_e32 v109, 0xbf59a7d5, v63
	v_fma_f32 v22, 0xbf1a4643, v54, -v112
	v_add_f32_e32 v12, v23, v13
	v_fma_f32 v13, 0xbf1a4643, v56, -v108
	s_delay_alu instid0(VALU_DEP_4) | instskip(NEXT) | instid1(VALU_DEP_2)
	v_add_f32_e32 v11, v109, v11
	v_add_f32_e32 v12, v13, v12
	v_fma_f32 v13, 0x3f3d2fb0, v60, -v113
	s_delay_alu instid0(VALU_DEP_3) | instskip(NEXT) | instid1(VALU_DEP_2)
	v_add_f32_e32 v23, v111, v11
	v_dual_add_f32 v11, v13, v12 :: v_dual_add_f32 v12, v22, v10
	v_fma_f32 v13, 0xbf7ba420, v52, -v114
	s_delay_alu instid0(VALU_DEP_1) | instskip(SKIP_1) | instid1(VALU_DEP_1)
	v_add_f32_e32 v12, v13, v12
	v_fma_f32 v13, 0xbe8c1d8e, v50, -v116
	v_add_f32_e32 v12, v13, v12
	v_add_f32_e32 v10, v115, v23
	;; [unrolled: 1-line block ×3, first 2 shown]
	v_fma_f32 v13, 0x3f3d2fb0, v51, -v118
	v_fma_f32 v23, 0x3f3d2fb0, v55, -v124
	s_delay_alu instid0(VALU_DEP_2) | instskip(NEXT) | instid1(VALU_DEP_4)
	v_add_f32_e32 v12, v13, v12
	v_add_f32_e32 v22, v119, v22
	v_fma_f32 v13, 0x3f6eb680, v53, -v120
	s_delay_alu instid0(VALU_DEP_1) | instskip(NEXT) | instid1(VALU_DEP_1)
	v_dual_fmac_f32 v121, 0xbf7ba420, v59 :: v_dual_add_f32 v12, v13, v12
	v_add_f32_e32 v22, v121, v22
	v_fma_f32 v13, 0x3dbcf732, v56, -v122
	s_delay_alu instid0(VALU_DEP_2) | instskip(NEXT) | instid1(VALU_DEP_2)
	v_add_f32_e32 v22, v123, v22
	v_add_f32_e32 v12, v13, v12
	v_fma_f32 v13, 0xbf59a7d5, v60, -v133
	s_delay_alu instid0(VALU_DEP_3) | instskip(SKIP_1) | instid1(VALU_DEP_2)
	v_add_f32_e32 v22, v125, v22
	v_add_f32_e32 v23, v37, v23
	v_dual_add_f32 v13, v13, v12 :: v_dual_add_f32 v22, v127, v22
	s_delay_alu instid0(VALU_DEP_2) | instskip(SKIP_1) | instid1(VALU_DEP_1)
	v_add_f32_e32 v23, v24, v23
	v_fma_f32 v24, 0xbf1a4643, v52, -v128
	v_dual_add_f32 v12, v129, v22 :: v_dual_add_f32 v23, v24, v23
	v_fma_f32 v24, 0xbf7ba420, v50, -v131
	s_delay_alu instid0(VALU_DEP_1) | instskip(SKIP_1) | instid1(VALU_DEP_1)
	v_dual_add_f32 v12, v137, v12 :: v_dual_add_f32 v23, v24, v23
	v_fma_f32 v24, 0xbf59a7d5, v51, -v135
	v_add_f32_e32 v23, v24, v23
	v_fma_f32 v24, 0xbe8c1d8e, v53, -v139
	s_delay_alu instid0(VALU_DEP_1) | instskip(SKIP_2) | instid1(VALU_DEP_1)
	v_add_f32_e32 v22, v24, v23
	v_fma_f32 v23, 0x3ee437d1, v56, -v141
	v_add_f32_e32 v24, v36, v130
	v_dual_add_f32 v22, v23, v22 :: v_dual_add_f32 v23, v132, v24
	v_add_f32_e32 v24, v37, v25
	v_fma_f32 v25, 0x3f3d2fb0, v54, -v69
	v_fmac_f32_e32 v140, 0xbe8c1d8e, v63
	s_delay_alu instid0(VALU_DEP_4) | instskip(NEXT) | instid1(VALU_DEP_3)
	v_add_f32_e32 v23, v134, v23
	v_dual_fmac_f32 v73, 0x3f6eb680, v57 :: v_dual_add_f32 v24, v25, v24
	v_fma_f32 v25, 0x3ee437d1, v52, -v68
	s_delay_alu instid0(VALU_DEP_2) | instskip(NEXT) | instid1(VALU_DEP_2)
	v_add_f32_e32 v26, v36, v73
	v_add_f32_e32 v24, v25, v24
	v_fma_f32 v25, 0x3dbcf732, v50, -v66
	s_delay_alu instid0(VALU_DEP_1) | instskip(SKIP_1) | instid1(VALU_DEP_1)
	v_add_f32_e32 v24, v25, v24
	v_fma_f32 v25, 0xbe8c1d8e, v51, -v67
	v_add_f32_e32 v24, v25, v24
	v_fma_f32 v25, 0xbf1a4643, v53, -v71
	v_fmac_f32_e32 v138, 0xbf59a7d5, v62
	v_fmac_f32_e32 v136, 0xbf7ba420, v61
	s_delay_alu instid0(VALU_DEP_1) | instskip(NEXT) | instid1(VALU_DEP_1)
	v_dual_fmac_f32 v74, 0x3f3d2fb0, v58 :: v_dual_add_f32 v23, v136, v23
	v_add_f32_e32 v23, v138, v23
	s_delay_alu instid0(VALU_DEP_1) | instskip(NEXT) | instid1(VALU_DEP_1)
	v_dual_add_f32 v26, v74, v26 :: v_dual_add_f32 v23, v140, v23
	v_add_f32_e32 v26, v75, v26
	s_delay_alu instid0(VALU_DEP_2) | instskip(SKIP_1) | instid1(VALU_DEP_1)
	v_dual_add_f32 v28, v142, v23 :: v_dual_add_f32 v23, v25, v24
	v_fma_f32 v24, 0xbf59a7d5, v56, -v78
	v_add_f32_e32 v24, v24, v23
	s_delay_alu instid0(VALU_DEP_4) | instskip(NEXT) | instid1(VALU_DEP_4)
	v_add_f32_e32 v26, v76, v26
	v_dual_add_f32 v23, v27, v22 :: v_dual_add_f32 v22, v144, v28
	s_delay_alu instid0(VALU_DEP_2) | instskip(NEXT) | instid1(VALU_DEP_1)
	v_add_f32_e32 v26, v77, v26
	v_add_f32_e32 v25, v79, v26
	v_mul_u32_u24_e32 v26, 0x88, v32
	s_delay_alu instid0(VALU_DEP_2) | instskip(NEXT) | instid1(VALU_DEP_2)
	v_dual_add_f32 v30, v80, v25 :: v_dual_add_f32 v25, v29, v24
	v_add3_u32 v26, 0, v26, v49
	s_delay_alu instid0(VALU_DEP_2)
	v_add_f32_e32 v24, v72, v30
	ds_store_2addr_b64 v26, v[0:1], v[18:19] offset1:1
	ds_store_2addr_b64 v26, v[16:17], v[14:15] offset0:2 offset1:3
	ds_store_2addr_b64 v26, v[4:5], v[2:3] offset0:4 offset1:5
	;; [unrolled: 1-line block ×7, first 2 shown]
	ds_store_b64 v26, v[24:25] offset:128
.LBB0_12:
	s_wait_alu 0xfffe
	s_or_b32 exec_lo, exec_lo, s1
	v_mul_u32_u24_e32 v0, 3, v32
	global_wb scope:SCOPE_SE
	s_wait_dscnt 0x0
	s_barrier_signal -1
	s_barrier_wait -1
	global_inv scope:SCOPE_SE
	v_dual_mov_b32 v1, 0 :: v_dual_lshlrev_b32 v0, 3, v0
	v_add_nc_u32_e32 v42, 34, v32
	s_mov_b32 s1, exec_lo
	s_clause 0x1
	global_load_b128 v[2:5], v0, s[4:5]
	global_load_b64 v[30:31], v0, s[4:5] offset:16
	v_dual_mov_b32 v41, v1 :: v_dual_and_b32 v0, 0xff, v42
	v_mov_b32_e32 v43, v1
	s_delay_alu instid0(VALU_DEP_2) | instskip(NEXT) | instid1(VALU_DEP_1)
	v_mul_lo_u16 v0, 0xf1, v0
	v_lshrrev_b16 v0, 12, v0
	s_delay_alu instid0(VALU_DEP_1) | instskip(NEXT) | instid1(VALU_DEP_1)
	v_mul_lo_u16 v0, v0, 17
	v_sub_nc_u16 v0, v42, v0
	s_delay_alu instid0(VALU_DEP_1) | instskip(NEXT) | instid1(VALU_DEP_1)
	v_and_b32_e32 v54, 0xff, v0
	v_mul_u32_u24_e32 v0, 3, v54
	s_delay_alu instid0(VALU_DEP_1)
	v_lshlrev_b32_e32 v0, 3, v0
	s_clause 0x1
	global_load_b128 v[6:9], v0, s[4:5]
	global_load_b64 v[36:37], v0, s[4:5] offset:16
	ds_load_2addr_b64 v[10:13], v48 offset0:51 offset1:68
	ds_load_2addr_b64 v[14:17], v48 offset0:85 offset1:102
	;; [unrolled: 1-line block ×5, first 2 shown]
	v_lshlrev_b32_e32 v0, 1, v32
	ds_load_b64 v[44:45], v46
	ds_load_b64 v[50:51], v48 offset:1496
	v_lshlrev_b32_e32 v42, 1, v42
	global_wb scope:SCOPE_SE
	s_wait_loadcnt_dscnt 0x0
	s_barrier_signal -1
	s_barrier_wait -1
	global_inv scope:SCOPE_SE
	v_mul_f32_e32 v55, v5, v17
	v_mul_f32_e32 v57, v31, v19
	v_lshlrev_b64_e32 v[38:39], 3, v[0:1]
	v_dual_mul_f32 v59, v3, v13 :: v_dual_add_nc_u32 v40, 34, v0
	v_add_nc_u32_e32 v0, 0x66, v0
	v_dual_mul_f32 v58, v31, v18 :: v_dual_mul_f32 v61, v21, v31
	v_dual_mul_f32 v31, v20, v31 :: v_dual_mul_f32 v60, v3, v12
	s_delay_alu instid0(VALU_DEP_3) | instskip(SKIP_4) | instid1(VALU_DEP_4)
	v_lshlrev_b64_e32 v[52:53], 3, v[0:1]
	v_lshlrev_b32_e32 v0, 3, v54
	v_mul_f32_e32 v54, v3, v10
	v_fma_f32 v12, v2, v12, -v59
	v_dual_fmac_f32 v31, v21, v30 :: v_dual_fmac_f32 v60, v2, v13
	v_add3_u32 v0, 0, v0, v49
	v_mul_f32_e32 v49, v3, v11
	v_dual_mul_f32 v3, v27, v5 :: v_dual_fmac_f32 v54, v2, v11
	v_fma_f32 v11, v4, v16, -v55
	v_dual_mul_f32 v56, v5, v16 :: v_dual_mul_f32 v5, v26, v5
	s_delay_alu instid0(VALU_DEP_4) | instskip(NEXT) | instid1(VALU_DEP_4)
	v_fma_f32 v10, v2, v10, -v49
	v_fma_f32 v2, v26, v4, -v3
	s_delay_alu instid0(VALU_DEP_4) | instskip(SKIP_3) | instid1(VALU_DEP_4)
	v_sub_f32_e32 v13, v44, v11
	v_fma_f32 v3, v20, v30, -v61
	v_dual_fmac_f32 v5, v27, v4 :: v_dual_fmac_f32 v56, v4, v17
	v_fma_f32 v16, v30, v18, -v57
	v_fma_f32 v20, v44, 2.0, -v13
	v_add_co_u32 v38, s0, s4, v38
	s_delay_alu instid0(VALU_DEP_4) | instskip(SKIP_2) | instid1(VALU_DEP_3)
	v_dual_sub_f32 v17, v45, v56 :: v_dual_fmac_f32 v58, v30, v19
	v_sub_f32_e32 v19, v23, v5
	v_dual_sub_f32 v5, v12, v3 :: v_dual_sub_f32 v4, v10, v16
	v_fma_f32 v21, v45, 2.0, -v17
	s_delay_alu instid0(VALU_DEP_4) | instskip(NEXT) | instid1(VALU_DEP_4)
	v_sub_f32_e32 v11, v54, v58
	v_fma_f32 v23, v23, 2.0, -v19
	s_delay_alu instid0(VALU_DEP_4)
	v_fma_f32 v27, v12, 2.0, -v5
	v_dual_add_f32 v5, v19, v5 :: v_dual_sub_f32 v18, v22, v2
	v_add_f32_e32 v3, v17, v4
	v_fma_f32 v26, v54, 2.0, -v11
	v_sub_f32_e32 v16, v60, v31
	v_fma_f32 v10, v10, 2.0, -v4
	v_sub_f32_e32 v2, v13, v11
	;; [unrolled: 2-line block ×4, first 2 shown]
	v_sub_f32_e32 v10, v20, v10
	v_fma_f32 v12, v13, 2.0, -v2
	v_fma_f32 v13, v17, 2.0, -v3
	v_dual_sub_f32 v16, v22, v27 :: v_dual_sub_f32 v17, v23, v30
	v_dual_mul_f32 v26, v15, v7 :: v_dual_mul_f32 v31, v50, v37
	v_mul_f32_e32 v7, v14, v7
	v_mul_f32_e32 v27, v29, v9
	;; [unrolled: 1-line block ×4, first 2 shown]
	v_fma_f32 v14, v14, v6, -v26
	v_fmac_f32_e32 v7, v15, v6
	v_fma_f32 v6, v28, v8, -v27
	v_fmac_f32_e32 v9, v29, v8
	;; [unrolled: 2-line block ×3, first 2 shown]
	s_wait_alu 0xf1ff
	v_add_co_ci_u32_e64 v39, s0, s5, v39, s0
	v_dual_sub_f32 v26, v24, v6 :: v_dual_sub_f32 v27, v25, v9
	s_delay_alu instid0(VALU_DEP_3) | instskip(SKIP_1) | instid1(VALU_DEP_3)
	v_dual_sub_f32 v9, v14, v8 :: v_dual_sub_f32 v8, v7, v31
	v_fma_f32 v6, v22, 2.0, -v16
	v_fma_f32 v22, v24, 2.0, -v26
	s_delay_alu instid0(VALU_DEP_4) | instskip(NEXT) | instid1(VALU_DEP_4)
	v_fma_f32 v24, v25, 2.0, -v27
	v_fma_f32 v14, v14, 2.0, -v9
	;; [unrolled: 1-line block ×3, first 2 shown]
	v_dual_sub_f32 v8, v26, v8 :: v_dual_add_f32 v9, v27, v9
	v_fma_f32 v20, v20, 2.0, -v10
	s_delay_alu instid0(VALU_DEP_3)
	v_dual_sub_f32 v14, v22, v14 :: v_dual_sub_f32 v15, v24, v15
	v_fma_f32 v21, v21, 2.0, -v11
	v_lshlrev_b64_e32 v[40:41], 3, v[40:41]
	v_fma_f32 v18, v18, 2.0, -v4
	v_fma_f32 v19, v19, 2.0, -v5
	;; [unrolled: 1-line block ×3, first 2 shown]
	ds_store_2addr_b64 v48, v[10:11], v[2:3] offset0:34 offset1:51
	v_fma_f32 v2, v26, 2.0, -v8
	v_fma_f32 v3, v27, 2.0, -v9
	;; [unrolled: 1-line block ×4, first 2 shown]
	v_lshlrev_b64_e32 v[42:43], 3, v[42:43]
	ds_store_2addr_b64 v48, v[16:17], v[4:5] offset0:102 offset1:119
	ds_store_2addr_b64 v48, v[20:21], v[12:13] offset1:17
	ds_store_2addr_b64 v48, v[6:7], v[18:19] offset0:68 offset1:85
	ds_store_2addr_b64 v0, v[14:15], v[8:9] offset0:170 offset1:187
	;; [unrolled: 1-line block ×3, first 2 shown]
	global_wb scope:SCOPE_SE
	s_wait_dscnt 0x0
	s_barrier_signal -1
	s_barrier_wait -1
	global_inv scope:SCOPE_SE
	global_load_b128 v[2:5], v[38:39], off offset:408
	v_add_co_u32 v40, s0, s4, v40
	s_wait_alu 0xf1ff
	v_add_co_ci_u32_e64 v41, s0, s5, v41, s0
	v_add_co_u32 v10, s0, s4, v42
	s_wait_alu 0xf1ff
	v_add_co_ci_u32_e64 v11, s0, s5, v43, s0
	global_load_b128 v[6:9], v[40:41], off offset:408
	v_add_co_u32 v14, s0, s4, v52
	s_wait_alu 0xf1ff
	v_add_co_ci_u32_e64 v15, s0, s5, v53, s0
	s_clause 0x1
	global_load_b128 v[10:13], v[10:11], off offset:408
	global_load_b128 v[14:17], v[14:15], off offset:408
	ds_load_2addr_b64 v[18:21], v48 offset0:51 offset1:68
	ds_load_2addr_b64 v[22:25], v48 offset0:119 offset1:136
	;; [unrolled: 1-line block ×4, first 2 shown]
	ds_load_b64 v[30:31], v46
	ds_load_b64 v[44:45], v48 offset:1496
	ds_load_2addr_b64 v[40:43], v48 offset0:17 offset1:34
	global_wb scope:SCOPE_SE
	s_wait_loadcnt_dscnt 0x0
	s_barrier_signal -1
	s_barrier_wait -1
	global_inv scope:SCOPE_SE
	v_mul_f32_e32 v0, v3, v21
	v_mul_f32_e32 v49, v5, v25
	;; [unrolled: 1-line block ×3, first 2 shown]
	s_delay_alu instid0(VALU_DEP_3) | instskip(SKIP_3) | instid1(VALU_DEP_3)
	v_fma_f32 v0, v2, v20, -v0
	v_mul_f32_e32 v3, v3, v20
	v_mul_f32_e32 v50, v7, v27
	;; [unrolled: 1-line block ×3, first 2 shown]
	v_fmac_f32_e32 v3, v2, v21
	v_mul_f32_e32 v51, v9, v37
	v_fma_f32 v2, v4, v24, -v49
	v_dual_mul_f32 v9, v9, v36 :: v_dual_mul_f32 v52, v11, v29
	v_dual_mul_f32 v54, v23, v15 :: v_dual_fmac_f32 v5, v4, v25
	v_fma_f32 v4, v6, v26, -v50
	v_mul_f32_e32 v53, v39, v13
	v_fmac_f32_e32 v7, v6, v27
	v_fma_f32 v6, v8, v36, -v51
	v_mul_f32_e32 v11, v11, v28
	v_fmac_f32_e32 v9, v8, v37
	v_fma_f32 v8, v10, v28, -v52
	v_add_f32_e32 v24, v40, v4
	s_delay_alu instid0(VALU_DEP_4) | instskip(SKIP_3) | instid1(VALU_DEP_3)
	v_dual_sub_f32 v28, v4, v6 :: v_dual_fmac_f32 v11, v10, v29
	v_fma_f32 v10, v38, v12, -v53
	v_mul_f32_e32 v13, v38, v13
	v_dual_mul_f32 v15, v22, v15 :: v_dual_sub_f32 v26, v7, v9
	v_dual_add_f32 v29, v42, v8 :: v_dual_add_f32 v36, v8, v10
	s_delay_alu instid0(VALU_DEP_3) | instskip(SKIP_1) | instid1(VALU_DEP_4)
	v_fmac_f32_e32 v13, v39, v12
	v_fma_f32 v12, v22, v14, -v54
	v_fmac_f32_e32 v15, v23, v14
	v_add_f32_e32 v20, v0, v2
	v_fma_f32 v42, -0.5, v36, v42
	v_add_f32_e32 v25, v4, v6
	v_dual_add_f32 v4, v24, v6 :: v_dual_mul_f32 v55, v45, v17
	v_dual_add_f32 v38, v43, v11 :: v_dual_mul_f32 v17, v44, v17
	v_dual_sub_f32 v39, v8, v10 :: v_dual_add_f32 v50, v19, v15
	s_delay_alu instid0(VALU_DEP_3) | instskip(SKIP_3) | instid1(VALU_DEP_4)
	v_fma_f32 v14, v44, v16, -v55
	v_add_f32_e32 v44, v18, v12
	v_fma_f32 v6, -0.5, v25, v40
	v_fmac_f32_e32 v17, v45, v16
	v_dual_add_f32 v16, v30, v0 :: v_dual_add_f32 v45, v12, v14
	v_fma_f32 v30, -0.5, v20, v30
	v_dual_add_f32 v8, v29, v10 :: v_dual_sub_f32 v21, v3, v5
	v_dual_add_f32 v10, v44, v14 :: v_dual_sub_f32 v37, v11, v13
	;; [unrolled: 1-line block ×3, first 2 shown]
	v_add_f32_e32 v11, v11, v13
	v_sub_f32_e32 v51, v12, v14
	v_add_f32_e32 v2, v16, v2
	v_fmamk_f32 v16, v37, 0x3f5db3d7, v42
	v_fma_f32 v18, -0.5, v45, v18
	v_fmamk_f32 v14, v26, 0x3f5db3d7, v6
	v_fmac_f32_e32 v6, 0xbf5db3d7, v26
	v_fmamk_f32 v12, v21, 0x3f5db3d7, v30
	v_fmac_f32_e32 v30, 0xbf5db3d7, v21
	v_sub_f32_e32 v49, v15, v17
	v_add_f32_e32 v27, v41, v7
	v_add_f32_e32 v7, v7, v9
	;; [unrolled: 1-line block ×4, first 2 shown]
	v_dual_fmamk_f32 v20, v49, 0x3f5db3d7, v18 :: v_dual_fmac_f32 v31, -0.5, v23
	s_delay_alu instid0(VALU_DEP_4)
	v_fma_f32 v7, -0.5, v7, v41
	v_fmac_f32_e32 v43, -0.5, v11
	v_fmac_f32_e32 v19, -0.5, v15
	v_add_f32_e32 v3, v22, v5
	v_fmac_f32_e32 v18, 0xbf5db3d7, v49
	v_add_f32_e32 v5, v27, v9
	v_add_f32_e32 v9, v38, v13
	;; [unrolled: 1-line block ×3, first 2 shown]
	v_fmamk_f32 v13, v0, 0xbf5db3d7, v31
	v_fmac_f32_e32 v31, 0x3f5db3d7, v0
	v_fmamk_f32 v15, v28, 0xbf5db3d7, v7
	v_fmamk_f32 v17, v39, 0xbf5db3d7, v43
	v_fmac_f32_e32 v7, 0x3f5db3d7, v28
	v_dual_fmamk_f32 v21, v51, 0xbf5db3d7, v19 :: v_dual_fmac_f32 v42, 0xbf5db3d7, v37
	v_fmac_f32_e32 v43, 0x3f5db3d7, v39
	v_fmac_f32_e32 v19, 0x3f5db3d7, v51
	ds_store_2addr_b64 v48, v[2:3], v[4:5] offset1:17
	ds_store_2addr_b64 v48, v[8:9], v[10:11] offset0:34 offset1:51
	ds_store_2addr_b64 v48, v[12:13], v[30:31] offset0:68 offset1:136
	;; [unrolled: 1-line block ×5, first 2 shown]
	global_wb scope:SCOPE_SE
	s_wait_dscnt 0x0
	s_barrier_signal -1
	s_barrier_wait -1
	global_inv scope:SCOPE_SE
	ds_load_b64 v[4:5], v46
	v_sub_nc_u32_e32 v8, v33, v47
                                        ; implicit-def: $vgpr2
                                        ; implicit-def: $vgpr9
                                        ; implicit-def: $vgpr10
                                        ; implicit-def: $vgpr6_vgpr7
	v_cmpx_ne_u32_e32 0, v32
	s_wait_alu 0xfffe
	s_xor_b32 s1, exec_lo, s1
	s_cbranch_execz .LBB0_14
; %bb.13:
	ds_load_b64 v[2:3], v8 offset:1632
	s_wait_dscnt 0x0
	v_dual_mov_b32 v33, v1 :: v_dual_sub_f32 v6, v4, v2
	s_delay_alu instid0(VALU_DEP_1) | instskip(SKIP_2) | instid1(VALU_DEP_2)
	v_lshlrev_b64_e32 v[0:1], 3, v[32:33]
	v_dual_add_f32 v7, v3, v5 :: v_dual_add_f32 v2, v2, v4
	v_sub_f32_e32 v3, v5, v3
	v_dual_mul_f32 v5, 0.5, v6 :: v_dual_mul_f32 v6, 0.5, v7
	s_delay_alu instid0(VALU_DEP_4)
	v_add_co_u32 v0, s0, s4, v0
	s_wait_alu 0xf1ff
	v_add_co_ci_u32_e64 v1, s0, s5, v1, s0
	global_load_b64 v[0:1], v[0:1], off offset:1496
	s_wait_loadcnt 0x0
	v_dual_mul_f32 v3, 0.5, v3 :: v_dual_mul_f32 v4, v1, v5
	s_delay_alu instid0(VALU_DEP_1) | instskip(SKIP_1) | instid1(VALU_DEP_3)
	v_fma_f32 v7, v6, v1, v3
	v_fma_f32 v1, v6, v1, -v3
	v_fma_f32 v9, 0.5, v2, v4
	v_fma_f32 v2, v2, 0.5, -v4
	s_delay_alu instid0(VALU_DEP_4) | instskip(NEXT) | instid1(VALU_DEP_4)
	v_fma_f32 v10, -v0, v5, v7
	v_fma_f32 v3, -v0, v5, v1
                                        ; implicit-def: $vgpr4_vgpr5
	s_delay_alu instid0(VALU_DEP_4) | instskip(NEXT) | instid1(VALU_DEP_4)
	v_fmac_f32_e32 v9, v0, v6
	v_fma_f32 v2, -v0, v6, v2
	v_dual_mov_b32 v6, v32 :: v_dual_mov_b32 v7, v33
                                        ; implicit-def: $vgpr33
.LBB0_14:
	s_wait_alu 0xfffe
	s_and_not1_saveexec_b32 s0, s1
	s_cbranch_execz .LBB0_16
; %bb.15:
	ds_load_b32 v0, v33 offset:820
	s_wait_dscnt 0x1
	v_dual_add_f32 v9, v4, v5 :: v_dual_mov_b32 v6, 0
	v_dual_sub_f32 v2, v4, v5 :: v_dual_mov_b32 v7, 0
	v_dual_mov_b32 v10, 0 :: v_dual_mov_b32 v3, 0
	s_wait_dscnt 0x0
	v_xor_b32_e32 v0, 0x80000000, v0
	ds_store_b32 v33, v0 offset:820
.LBB0_16:
	s_wait_alu 0xfffe
	s_or_b32 exec_lo, exec_lo, s0
	v_lshlrev_b64_e32 v[0:1], 3, v[6:7]
	s_add_nc_u64 s[0:1], s[4:5], 0x5d8
	s_wait_dscnt 0x0
	s_wait_alu 0xfffe
	s_delay_alu instid0(VALU_DEP_1)
	v_add_co_u32 v4, s0, s0, v0
	s_wait_alu 0xf1ff
	v_add_co_ci_u32_e64 v5, s0, s1, v1, s0
	s_clause 0x4
	global_load_b64 v[6:7], v[4:5], off offset:136
	global_load_b64 v[11:12], v[4:5], off offset:272
	global_load_b64 v[13:14], v[4:5], off offset:408
	global_load_b64 v[15:16], v[4:5], off offset:544
	global_load_b64 v[4:5], v[4:5], off offset:680
	ds_store_2addr_b32 v46, v9, v10 offset1:1
	ds_store_b64 v8, v[2:3] offset:1632
	ds_load_b64 v[2:3], v46 offset:136
	ds_load_b64 v[9:10], v8 offset:1496
	s_wait_dscnt 0x0
	v_dual_sub_f32 v17, v2, v9 :: v_dual_add_f32 v18, v3, v10
	v_dual_sub_f32 v3, v3, v10 :: v_dual_add_f32 v2, v2, v9
	s_delay_alu instid0(VALU_DEP_2) | instskip(NEXT) | instid1(VALU_DEP_2)
	v_dual_mul_f32 v10, 0.5, v17 :: v_dual_mul_f32 v17, 0.5, v18
	v_mul_f32_e32 v3, 0.5, v3
	s_wait_loadcnt 0x4
	s_delay_alu instid0(VALU_DEP_2) | instskip(NEXT) | instid1(VALU_DEP_2)
	v_mul_f32_e32 v9, v7, v10
	v_fma_f32 v18, v17, v7, v3
	v_fma_f32 v3, v17, v7, -v3
	s_delay_alu instid0(VALU_DEP_3) | instskip(SKIP_1) | instid1(VALU_DEP_4)
	v_fma_f32 v7, 0.5, v2, v9
	v_fma_f32 v2, v2, 0.5, -v9
	v_fma_f32 v9, -v6, v10, v18
	s_delay_alu instid0(VALU_DEP_4) | instskip(NEXT) | instid1(VALU_DEP_4)
	v_fma_f32 v3, -v6, v10, v3
	v_fmac_f32_e32 v7, v6, v17
	s_delay_alu instid0(VALU_DEP_4)
	v_fma_f32 v2, -v6, v17, v2
	ds_store_2addr_b32 v46, v7, v9 offset0:34 offset1:35
	ds_store_b64 v8, v[2:3] offset:1496
	ds_load_b64 v[2:3], v46 offset:272
	ds_load_b64 v[6:7], v8 offset:1360
	s_wait_dscnt 0x0
	v_dual_sub_f32 v9, v2, v6 :: v_dual_add_f32 v10, v3, v7
	v_dual_sub_f32 v3, v3, v7 :: v_dual_add_f32 v2, v2, v6
	s_delay_alu instid0(VALU_DEP_2) | instskip(NEXT) | instid1(VALU_DEP_3)
	v_mul_f32_e32 v7, 0.5, v9
	v_mul_f32_e32 v9, 0.5, v10
	s_delay_alu instid0(VALU_DEP_3) | instskip(SKIP_1) | instid1(VALU_DEP_3)
	v_mul_f32_e32 v3, 0.5, v3
	s_wait_loadcnt 0x3
	v_mul_f32_e32 v6, v12, v7
	s_delay_alu instid0(VALU_DEP_2) | instskip(SKIP_1) | instid1(VALU_DEP_3)
	v_fma_f32 v10, v9, v12, v3
	v_fma_f32 v3, v9, v12, -v3
	v_fma_f32 v12, 0.5, v2, v6
	v_fma_f32 v2, v2, 0.5, -v6
	s_delay_alu instid0(VALU_DEP_4) | instskip(NEXT) | instid1(VALU_DEP_4)
	v_fma_f32 v6, -v11, v7, v10
	v_fma_f32 v3, -v11, v7, v3
	s_delay_alu instid0(VALU_DEP_4) | instskip(NEXT) | instid1(VALU_DEP_4)
	v_fmac_f32_e32 v12, v11, v9
	v_fma_f32 v2, -v11, v9, v2
	ds_store_2addr_b32 v46, v12, v6 offset0:68 offset1:69
	ds_store_b64 v8, v[2:3] offset:1360
	ds_load_b64 v[2:3], v46 offset:408
	ds_load_b64 v[6:7], v8 offset:1224
	s_wait_dscnt 0x0
	v_dual_sub_f32 v9, v2, v6 :: v_dual_add_f32 v10, v3, v7
	v_dual_sub_f32 v3, v3, v7 :: v_dual_add_f32 v2, v2, v6
	s_delay_alu instid0(VALU_DEP_2) | instskip(NEXT) | instid1(VALU_DEP_3)
	v_mul_f32_e32 v7, 0.5, v9
	v_mul_f32_e32 v9, 0.5, v10
	s_delay_alu instid0(VALU_DEP_3) | instskip(SKIP_1) | instid1(VALU_DEP_3)
	v_mul_f32_e32 v3, 0.5, v3
	s_wait_loadcnt 0x2
	v_mul_f32_e32 v6, v14, v7
	s_delay_alu instid0(VALU_DEP_2) | instskip(SKIP_1) | instid1(VALU_DEP_3)
	v_fma_f32 v10, v9, v14, v3
	v_fma_f32 v3, v9, v14, -v3
	v_fma_f32 v11, 0.5, v2, v6
	v_fma_f32 v2, v2, 0.5, -v6
	s_delay_alu instid0(VALU_DEP_4) | instskip(NEXT) | instid1(VALU_DEP_4)
	v_fma_f32 v6, -v13, v7, v10
	v_fma_f32 v3, -v13, v7, v3
	s_delay_alu instid0(VALU_DEP_4) | instskip(NEXT) | instid1(VALU_DEP_4)
	v_fmac_f32_e32 v11, v13, v9
	;; [unrolled: 25-line block ×4, first 2 shown]
	v_fma_f32 v2, -v4, v9, v2
	ds_store_2addr_b32 v46, v5, v6 offset0:170 offset1:171
	ds_store_b64 v8, v[2:3] offset:952
	global_wb scope:SCOPE_SE
	s_wait_dscnt 0x0
	s_barrier_signal -1
	s_barrier_wait -1
	global_inv scope:SCOPE_SE
	s_and_saveexec_b32 s0, vcc_lo
	s_cbranch_execz .LBB0_19
; %bb.17:
	ds_load_2addr_b64 v[4:7], v46 offset1:17
	ds_load_2addr_b64 v[8:11], v46 offset0:34 offset1:51
	ds_load_2addr_b64 v[12:15], v46 offset0:68 offset1:85
	;; [unrolled: 1-line block ×5, first 2 shown]
	v_add_co_u32 v2, vcc_lo, s8, v34
	s_wait_alu 0xfffd
	v_add_co_ci_u32_e32 v3, vcc_lo, s9, v35, vcc_lo
	s_delay_alu instid0(VALU_DEP_2) | instskip(SKIP_1) | instid1(VALU_DEP_2)
	v_add_co_u32 v0, vcc_lo, v2, v0
	s_wait_alu 0xfffd
	v_add_co_ci_u32_e32 v1, vcc_lo, v3, v1, vcc_lo
	v_cmp_eq_u32_e32 vcc_lo, 16, v32
	s_wait_dscnt 0x5
	s_clause 0x1
	global_store_b64 v[0:1], v[4:5], off
	global_store_b64 v[0:1], v[6:7], off offset:136
	s_wait_dscnt 0x4
	s_clause 0x1
	global_store_b64 v[0:1], v[8:9], off offset:272
	global_store_b64 v[0:1], v[10:11], off offset:408
	s_wait_dscnt 0x3
	s_clause 0x1
	global_store_b64 v[0:1], v[12:13], off offset:544
	;; [unrolled: 4-line block ×5, first 2 shown]
	global_store_b64 v[0:1], v[26:27], off offset:1496
	s_and_b32 exec_lo, exec_lo, vcc_lo
	s_cbranch_execz .LBB0_19
; %bb.18:
	ds_load_b64 v[0:1], v46 offset:1504
	s_wait_dscnt 0x0
	global_store_b64 v[2:3], v[0:1], off offset:1632
.LBB0_19:
	s_nop 0
	s_sendmsg sendmsg(MSG_DEALLOC_VGPRS)
	s_endpgm
	.section	.rodata,"a",@progbits
	.p2align	6, 0x0
	.amdhsa_kernel fft_rtc_fwd_len204_factors_17_4_3_wgs_119_tpt_17_halfLds_sp_ip_CI_unitstride_sbrr_R2C_dirReg
		.amdhsa_group_segment_fixed_size 0
		.amdhsa_private_segment_fixed_size 0
		.amdhsa_kernarg_size 88
		.amdhsa_user_sgpr_count 2
		.amdhsa_user_sgpr_dispatch_ptr 0
		.amdhsa_user_sgpr_queue_ptr 0
		.amdhsa_user_sgpr_kernarg_segment_ptr 1
		.amdhsa_user_sgpr_dispatch_id 0
		.amdhsa_user_sgpr_private_segment_size 0
		.amdhsa_wavefront_size32 1
		.amdhsa_uses_dynamic_stack 0
		.amdhsa_enable_private_segment 0
		.amdhsa_system_sgpr_workgroup_id_x 1
		.amdhsa_system_sgpr_workgroup_id_y 0
		.amdhsa_system_sgpr_workgroup_id_z 0
		.amdhsa_system_sgpr_workgroup_info 0
		.amdhsa_system_vgpr_workitem_id 0
		.amdhsa_next_free_vgpr 148
		.amdhsa_next_free_sgpr 32
		.amdhsa_reserve_vcc 1
		.amdhsa_float_round_mode_32 0
		.amdhsa_float_round_mode_16_64 0
		.amdhsa_float_denorm_mode_32 3
		.amdhsa_float_denorm_mode_16_64 3
		.amdhsa_fp16_overflow 0
		.amdhsa_workgroup_processor_mode 1
		.amdhsa_memory_ordered 1
		.amdhsa_forward_progress 0
		.amdhsa_round_robin_scheduling 0
		.amdhsa_exception_fp_ieee_invalid_op 0
		.amdhsa_exception_fp_denorm_src 0
		.amdhsa_exception_fp_ieee_div_zero 0
		.amdhsa_exception_fp_ieee_overflow 0
		.amdhsa_exception_fp_ieee_underflow 0
		.amdhsa_exception_fp_ieee_inexact 0
		.amdhsa_exception_int_div_zero 0
	.end_amdhsa_kernel
	.text
.Lfunc_end0:
	.size	fft_rtc_fwd_len204_factors_17_4_3_wgs_119_tpt_17_halfLds_sp_ip_CI_unitstride_sbrr_R2C_dirReg, .Lfunc_end0-fft_rtc_fwd_len204_factors_17_4_3_wgs_119_tpt_17_halfLds_sp_ip_CI_unitstride_sbrr_R2C_dirReg
                                        ; -- End function
	.section	.AMDGPU.csdata,"",@progbits
; Kernel info:
; codeLenInByte = 10392
; NumSgprs: 34
; NumVgprs: 148
; ScratchSize: 0
; MemoryBound: 0
; FloatMode: 240
; IeeeMode: 1
; LDSByteSize: 0 bytes/workgroup (compile time only)
; SGPRBlocks: 4
; VGPRBlocks: 18
; NumSGPRsForWavesPerEU: 34
; NumVGPRsForWavesPerEU: 148
; Occupancy: 9
; WaveLimiterHint : 1
; COMPUTE_PGM_RSRC2:SCRATCH_EN: 0
; COMPUTE_PGM_RSRC2:USER_SGPR: 2
; COMPUTE_PGM_RSRC2:TRAP_HANDLER: 0
; COMPUTE_PGM_RSRC2:TGID_X_EN: 1
; COMPUTE_PGM_RSRC2:TGID_Y_EN: 0
; COMPUTE_PGM_RSRC2:TGID_Z_EN: 0
; COMPUTE_PGM_RSRC2:TIDIG_COMP_CNT: 0
	.text
	.p2alignl 7, 3214868480
	.fill 96, 4, 3214868480
	.type	__hip_cuid_60666b7688974961,@object ; @__hip_cuid_60666b7688974961
	.section	.bss,"aw",@nobits
	.globl	__hip_cuid_60666b7688974961
__hip_cuid_60666b7688974961:
	.byte	0                               ; 0x0
	.size	__hip_cuid_60666b7688974961, 1

	.ident	"AMD clang version 19.0.0git (https://github.com/RadeonOpenCompute/llvm-project roc-6.4.0 25133 c7fe45cf4b819c5991fe208aaa96edf142730f1d)"
	.section	".note.GNU-stack","",@progbits
	.addrsig
	.addrsig_sym __hip_cuid_60666b7688974961
	.amdgpu_metadata
---
amdhsa.kernels:
  - .args:
      - .actual_access:  read_only
        .address_space:  global
        .offset:         0
        .size:           8
        .value_kind:     global_buffer
      - .offset:         8
        .size:           8
        .value_kind:     by_value
      - .actual_access:  read_only
        .address_space:  global
        .offset:         16
        .size:           8
        .value_kind:     global_buffer
      - .actual_access:  read_only
        .address_space:  global
        .offset:         24
        .size:           8
        .value_kind:     global_buffer
      - .offset:         32
        .size:           8
        .value_kind:     by_value
      - .actual_access:  read_only
        .address_space:  global
        .offset:         40
        .size:           8
        .value_kind:     global_buffer
      - .actual_access:  read_only
        .address_space:  global
        .offset:         48
        .size:           8
        .value_kind:     global_buffer
      - .offset:         56
        .size:           4
        .value_kind:     by_value
      - .actual_access:  read_only
        .address_space:  global
        .offset:         64
        .size:           8
        .value_kind:     global_buffer
      - .actual_access:  read_only
        .address_space:  global
        .offset:         72
        .size:           8
        .value_kind:     global_buffer
      - .address_space:  global
        .offset:         80
        .size:           8
        .value_kind:     global_buffer
    .group_segment_fixed_size: 0
    .kernarg_segment_align: 8
    .kernarg_segment_size: 88
    .language:       OpenCL C
    .language_version:
      - 2
      - 0
    .max_flat_workgroup_size: 119
    .name:           fft_rtc_fwd_len204_factors_17_4_3_wgs_119_tpt_17_halfLds_sp_ip_CI_unitstride_sbrr_R2C_dirReg
    .private_segment_fixed_size: 0
    .sgpr_count:     34
    .sgpr_spill_count: 0
    .symbol:         fft_rtc_fwd_len204_factors_17_4_3_wgs_119_tpt_17_halfLds_sp_ip_CI_unitstride_sbrr_R2C_dirReg.kd
    .uniform_work_group_size: 1
    .uses_dynamic_stack: false
    .vgpr_count:     148
    .vgpr_spill_count: 0
    .wavefront_size: 32
    .workgroup_processor_mode: 1
amdhsa.target:   amdgcn-amd-amdhsa--gfx1201
amdhsa.version:
  - 1
  - 2
...

	.end_amdgpu_metadata
